;; amdgpu-corpus repo=ROCm/rocFFT kind=compiled arch=gfx1030 opt=O3
	.text
	.amdgcn_target "amdgcn-amd-amdhsa--gfx1030"
	.amdhsa_code_object_version 6
	.protected	fft_rtc_fwd_len2700_factors_3_10_10_3_3_wgs_90_tpt_90_halfLds_sp_op_CI_CI_unitstride_sbrr_R2C_dirReg ; -- Begin function fft_rtc_fwd_len2700_factors_3_10_10_3_3_wgs_90_tpt_90_halfLds_sp_op_CI_CI_unitstride_sbrr_R2C_dirReg
	.globl	fft_rtc_fwd_len2700_factors_3_10_10_3_3_wgs_90_tpt_90_halfLds_sp_op_CI_CI_unitstride_sbrr_R2C_dirReg
	.p2align	8
	.type	fft_rtc_fwd_len2700_factors_3_10_10_3_3_wgs_90_tpt_90_halfLds_sp_op_CI_CI_unitstride_sbrr_R2C_dirReg,@function
fft_rtc_fwd_len2700_factors_3_10_10_3_3_wgs_90_tpt_90_halfLds_sp_op_CI_CI_unitstride_sbrr_R2C_dirReg: ; @fft_rtc_fwd_len2700_factors_3_10_10_3_3_wgs_90_tpt_90_halfLds_sp_op_CI_CI_unitstride_sbrr_R2C_dirReg
; %bb.0:
	s_clause 0x2
	s_load_dwordx4 s[12:15], s[4:5], 0x0
	s_load_dwordx4 s[8:11], s[4:5], 0x58
	;; [unrolled: 1-line block ×3, first 2 shown]
	v_mul_u32_u24_e32 v1, 0x2d9, v0
	v_mov_b32_e32 v3, 0
	v_add_nc_u32_sdwa v5, s6, v1 dst_sel:DWORD dst_unused:UNUSED_PAD src0_sel:DWORD src1_sel:WORD_1
	v_mov_b32_e32 v1, 0
	v_mov_b32_e32 v6, v3
	v_mov_b32_e32 v2, 0
	s_waitcnt lgkmcnt(0)
	v_cmp_lt_u64_e64 s0, s[14:15], 2
	s_and_b32 vcc_lo, exec_lo, s0
	s_cbranch_vccnz .LBB0_8
; %bb.1:
	s_load_dwordx2 s[0:1], s[4:5], 0x10
	v_mov_b32_e32 v1, 0
	v_mov_b32_e32 v2, 0
	s_add_u32 s2, s18, 8
	s_addc_u32 s3, s19, 0
	s_add_u32 s6, s16, 8
	s_addc_u32 s7, s17, 0
	v_mov_b32_e32 v59, v2
	v_mov_b32_e32 v58, v1
	s_mov_b64 s[22:23], 1
	s_waitcnt lgkmcnt(0)
	s_add_u32 s20, s0, 8
	s_addc_u32 s21, s1, 0
.LBB0_2:                                ; =>This Inner Loop Header: Depth=1
	s_load_dwordx2 s[24:25], s[20:21], 0x0
                                        ; implicit-def: $vgpr62_vgpr63
	s_mov_b32 s0, exec_lo
	s_waitcnt lgkmcnt(0)
	v_or_b32_e32 v4, s25, v6
	v_cmpx_ne_u64_e32 0, v[3:4]
	s_xor_b32 s1, exec_lo, s0
	s_cbranch_execz .LBB0_4
; %bb.3:                                ;   in Loop: Header=BB0_2 Depth=1
	v_cvt_f32_u32_e32 v4, s24
	v_cvt_f32_u32_e32 v7, s25
	s_sub_u32 s0, 0, s24
	s_subb_u32 s26, 0, s25
	v_fmac_f32_e32 v4, 0x4f800000, v7
	v_rcp_f32_e32 v4, v4
	v_mul_f32_e32 v4, 0x5f7ffffc, v4
	v_mul_f32_e32 v7, 0x2f800000, v4
	v_trunc_f32_e32 v7, v7
	v_fmac_f32_e32 v4, 0xcf800000, v7
	v_cvt_u32_f32_e32 v7, v7
	v_cvt_u32_f32_e32 v4, v4
	v_mul_lo_u32 v8, s0, v7
	v_mul_hi_u32 v9, s0, v4
	v_mul_lo_u32 v10, s26, v4
	v_add_nc_u32_e32 v8, v9, v8
	v_mul_lo_u32 v9, s0, v4
	v_add_nc_u32_e32 v8, v8, v10
	v_mul_hi_u32 v10, v4, v9
	v_mul_lo_u32 v11, v4, v8
	v_mul_hi_u32 v12, v4, v8
	v_mul_hi_u32 v13, v7, v9
	v_mul_lo_u32 v9, v7, v9
	v_mul_hi_u32 v14, v7, v8
	v_mul_lo_u32 v8, v7, v8
	v_add_co_u32 v10, vcc_lo, v10, v11
	v_add_co_ci_u32_e32 v11, vcc_lo, 0, v12, vcc_lo
	v_add_co_u32 v9, vcc_lo, v10, v9
	v_add_co_ci_u32_e32 v9, vcc_lo, v11, v13, vcc_lo
	v_add_co_ci_u32_e32 v10, vcc_lo, 0, v14, vcc_lo
	v_add_co_u32 v8, vcc_lo, v9, v8
	v_add_co_ci_u32_e32 v9, vcc_lo, 0, v10, vcc_lo
	v_add_co_u32 v4, vcc_lo, v4, v8
	v_add_co_ci_u32_e32 v7, vcc_lo, v7, v9, vcc_lo
	v_mul_hi_u32 v8, s0, v4
	v_mul_lo_u32 v10, s26, v4
	v_mul_lo_u32 v9, s0, v7
	v_add_nc_u32_e32 v8, v8, v9
	v_mul_lo_u32 v9, s0, v4
	v_add_nc_u32_e32 v8, v8, v10
	v_mul_hi_u32 v10, v4, v9
	v_mul_lo_u32 v11, v4, v8
	v_mul_hi_u32 v12, v4, v8
	v_mul_hi_u32 v13, v7, v9
	v_mul_lo_u32 v9, v7, v9
	v_mul_hi_u32 v14, v7, v8
	v_mul_lo_u32 v8, v7, v8
	v_add_co_u32 v10, vcc_lo, v10, v11
	v_add_co_ci_u32_e32 v11, vcc_lo, 0, v12, vcc_lo
	v_add_co_u32 v9, vcc_lo, v10, v9
	v_add_co_ci_u32_e32 v9, vcc_lo, v11, v13, vcc_lo
	v_add_co_ci_u32_e32 v10, vcc_lo, 0, v14, vcc_lo
	v_add_co_u32 v8, vcc_lo, v9, v8
	v_add_co_ci_u32_e32 v9, vcc_lo, 0, v10, vcc_lo
	v_add_co_u32 v4, vcc_lo, v4, v8
	v_add_co_ci_u32_e32 v11, vcc_lo, v7, v9, vcc_lo
	v_mul_hi_u32 v13, v5, v4
	v_mad_u64_u32 v[9:10], null, v6, v4, 0
	v_mad_u64_u32 v[7:8], null, v5, v11, 0
	;; [unrolled: 1-line block ×3, first 2 shown]
	v_add_co_u32 v4, vcc_lo, v13, v7
	v_add_co_ci_u32_e32 v7, vcc_lo, 0, v8, vcc_lo
	v_add_co_u32 v4, vcc_lo, v4, v9
	v_add_co_ci_u32_e32 v4, vcc_lo, v7, v10, vcc_lo
	v_add_co_ci_u32_e32 v7, vcc_lo, 0, v12, vcc_lo
	v_add_co_u32 v4, vcc_lo, v4, v11
	v_add_co_ci_u32_e32 v9, vcc_lo, 0, v7, vcc_lo
	v_mul_lo_u32 v10, s25, v4
	v_mad_u64_u32 v[7:8], null, s24, v4, 0
	v_mul_lo_u32 v11, s24, v9
	v_sub_co_u32 v7, vcc_lo, v5, v7
	v_add3_u32 v8, v8, v11, v10
	v_sub_nc_u32_e32 v10, v6, v8
	v_subrev_co_ci_u32_e64 v10, s0, s25, v10, vcc_lo
	v_add_co_u32 v11, s0, v4, 2
	v_add_co_ci_u32_e64 v12, s0, 0, v9, s0
	v_sub_co_u32 v13, s0, v7, s24
	v_sub_co_ci_u32_e32 v8, vcc_lo, v6, v8, vcc_lo
	v_subrev_co_ci_u32_e64 v10, s0, 0, v10, s0
	v_cmp_le_u32_e32 vcc_lo, s24, v13
	v_cmp_eq_u32_e64 s0, s25, v8
	v_cndmask_b32_e64 v13, 0, -1, vcc_lo
	v_cmp_le_u32_e32 vcc_lo, s25, v10
	v_cndmask_b32_e64 v14, 0, -1, vcc_lo
	v_cmp_le_u32_e32 vcc_lo, s24, v7
	;; [unrolled: 2-line block ×3, first 2 shown]
	v_cndmask_b32_e64 v15, 0, -1, vcc_lo
	v_cmp_eq_u32_e32 vcc_lo, s25, v10
	v_cndmask_b32_e64 v7, v15, v7, s0
	v_cndmask_b32_e32 v10, v14, v13, vcc_lo
	v_add_co_u32 v13, vcc_lo, v4, 1
	v_add_co_ci_u32_e32 v14, vcc_lo, 0, v9, vcc_lo
	v_cmp_ne_u32_e32 vcc_lo, 0, v10
	v_cndmask_b32_e32 v8, v14, v12, vcc_lo
	v_cndmask_b32_e32 v10, v13, v11, vcc_lo
	v_cmp_ne_u32_e32 vcc_lo, 0, v7
	v_cndmask_b32_e32 v63, v9, v8, vcc_lo
	v_cndmask_b32_e32 v62, v4, v10, vcc_lo
.LBB0_4:                                ;   in Loop: Header=BB0_2 Depth=1
	s_andn2_saveexec_b32 s0, s1
	s_cbranch_execz .LBB0_6
; %bb.5:                                ;   in Loop: Header=BB0_2 Depth=1
	v_cvt_f32_u32_e32 v4, s24
	s_sub_i32 s1, 0, s24
	v_mov_b32_e32 v63, v3
	v_rcp_iflag_f32_e32 v4, v4
	v_mul_f32_e32 v4, 0x4f7ffffe, v4
	v_cvt_u32_f32_e32 v4, v4
	v_mul_lo_u32 v7, s1, v4
	v_mul_hi_u32 v7, v4, v7
	v_add_nc_u32_e32 v4, v4, v7
	v_mul_hi_u32 v4, v5, v4
	v_mul_lo_u32 v7, v4, s24
	v_add_nc_u32_e32 v8, 1, v4
	v_sub_nc_u32_e32 v7, v5, v7
	v_subrev_nc_u32_e32 v9, s24, v7
	v_cmp_le_u32_e32 vcc_lo, s24, v7
	v_cndmask_b32_e32 v7, v7, v9, vcc_lo
	v_cndmask_b32_e32 v4, v4, v8, vcc_lo
	v_cmp_le_u32_e32 vcc_lo, s24, v7
	v_add_nc_u32_e32 v8, 1, v4
	v_cndmask_b32_e32 v62, v4, v8, vcc_lo
.LBB0_6:                                ;   in Loop: Header=BB0_2 Depth=1
	s_or_b32 exec_lo, exec_lo, s0
	v_mul_lo_u32 v4, v63, s24
	v_mul_lo_u32 v9, v62, s25
	s_load_dwordx2 s[0:1], s[6:7], 0x0
	v_mad_u64_u32 v[7:8], null, v62, s24, 0
	s_load_dwordx2 s[24:25], s[2:3], 0x0
	s_add_u32 s22, s22, 1
	s_addc_u32 s23, s23, 0
	s_add_u32 s2, s2, 8
	s_addc_u32 s3, s3, 0
	s_add_u32 s6, s6, 8
	v_add3_u32 v4, v8, v9, v4
	v_sub_co_u32 v5, vcc_lo, v5, v7
	s_addc_u32 s7, s7, 0
	s_add_u32 s20, s20, 8
	v_sub_co_ci_u32_e32 v4, vcc_lo, v6, v4, vcc_lo
	s_addc_u32 s21, s21, 0
	s_waitcnt lgkmcnt(0)
	v_mul_lo_u32 v6, s0, v4
	v_mul_lo_u32 v7, s1, v5
	v_mad_u64_u32 v[1:2], null, s0, v5, v[1:2]
	v_mul_lo_u32 v4, s24, v4
	v_mul_lo_u32 v8, s25, v5
	v_mad_u64_u32 v[58:59], null, s24, v5, v[58:59]
	v_cmp_ge_u64_e64 s0, s[22:23], s[14:15]
	v_add3_u32 v2, v7, v2, v6
	v_add3_u32 v59, v8, v59, v4
	s_and_b32 vcc_lo, exec_lo, s0
	s_cbranch_vccnz .LBB0_9
; %bb.7:                                ;   in Loop: Header=BB0_2 Depth=1
	v_mov_b32_e32 v5, v62
	v_mov_b32_e32 v6, v63
	s_branch .LBB0_2
.LBB0_8:
	v_mov_b32_e32 v59, v2
	v_mov_b32_e32 v63, v6
	;; [unrolled: 1-line block ×4, first 2 shown]
.LBB0_9:
	s_load_dwordx2 s[0:1], s[4:5], 0x28
	v_mul_hi_u32 v3, 0x2d82d83, v0
	s_lshl_b64 s[4:5], s[14:15], 3
                                        ; implicit-def: $vgpr56
                                        ; implicit-def: $vgpr60
                                        ; implicit-def: $vgpr71
                                        ; implicit-def: $vgpr70
                                        ; implicit-def: $vgpr69
                                        ; implicit-def: $vgpr68
                                        ; implicit-def: $vgpr67
                                        ; implicit-def: $vgpr66
                                        ; implicit-def: $vgpr65
                                        ; implicit-def: $vgpr64
	s_add_u32 s2, s18, s4
	s_addc_u32 s3, s19, s5
	s_waitcnt lgkmcnt(0)
	v_cmp_gt_u64_e32 vcc_lo, s[0:1], v[62:63]
	v_cmp_le_u64_e64 s0, s[0:1], v[62:63]
	s_and_saveexec_b32 s1, s0
	s_xor_b32 s0, exec_lo, s1
; %bb.10:
	v_mul_u32_u24_e32 v1, 0x5a, v3
                                        ; implicit-def: $vgpr3
	v_sub_nc_u32_e32 v56, v0, v1
                                        ; implicit-def: $vgpr0
                                        ; implicit-def: $vgpr1_vgpr2
	v_add_nc_u32_e32 v60, 0x5a, v56
	v_add_nc_u32_e32 v71, 0xb4, v56
	;; [unrolled: 1-line block ×9, first 2 shown]
; %bb.11:
	s_andn2_saveexec_b32 s1, s0
	s_cbranch_execz .LBB0_13
; %bb.12:
	s_add_u32 s4, s16, s4
	s_addc_u32 s5, s17, s5
	v_lshlrev_b64 v[1:2], 3, v[1:2]
	s_load_dwordx2 s[4:5], s[4:5], 0x0
	s_waitcnt lgkmcnt(0)
	v_mul_lo_u32 v6, s5, v62
	v_mul_lo_u32 v7, s4, v63
	v_mad_u64_u32 v[4:5], null, s4, v62, 0
	v_add3_u32 v5, v5, v7, v6
	v_mul_u32_u24_e32 v6, 0x5a, v3
	v_lshlrev_b64 v[3:4], 3, v[4:5]
	v_sub_nc_u32_e32 v56, v0, v6
	v_lshlrev_b32_e32 v57, 3, v56
	v_add_co_u32 v0, s0, s8, v3
	v_add_co_ci_u32_e64 v3, s0, s9, v4, s0
	v_add_nc_u32_e32 v60, 0x5a, v56
	v_add_co_u32 v0, s0, v0, v1
	v_add_co_ci_u32_e64 v1, s0, v3, v2, s0
	v_add_nc_u32_e32 v71, 0xb4, v56
	v_add_co_u32 v0, s0, v0, v57
	v_add_co_ci_u32_e64 v1, s0, 0, v1, s0
	v_add_nc_u32_e32 v57, 0, v57
	v_add_co_u32 v2, s0, 0x800, v0
	v_add_co_ci_u32_e64 v3, s0, 0, v1, s0
	v_add_co_u32 v6, s0, 0x1000, v0
	v_add_co_ci_u32_e64 v7, s0, 0, v1, s0
	;; [unrolled: 2-line block ×9, first 2 shown]
	s_clause 0x7
	global_load_dwordx2 v[4:5], v[0:1], off
	global_load_dwordx2 v[20:21], v[2:3], off offset:112
	global_load_dwordx2 v[22:23], v[0:1], off offset:1440
	;; [unrolled: 1-line block ×7, first 2 shown]
	v_add_co_u32 v0, s0, 0x5000, v0
	v_add_co_ci_u32_e64 v1, s0, 0, v1, s0
	s_clause 0x15
	global_load_dwordx2 v[6:7], v[6:7], off offset:1664
	global_load_dwordx2 v[34:35], v[8:9], off offset:336
	;; [unrolled: 1-line block ×22, first 2 shown]
	v_add_nc_u32_e32 v70, 0x10e, v56
	v_add_nc_u32_e32 v69, 0x168, v56
	;; [unrolled: 1-line block ×21, first 2 shown]
	s_waitcnt vmcnt(27)
	ds_write2_b64 v61, v[22:23], v[20:21] offset0:52 offset1:142
	s_waitcnt vmcnt(24)
	ds_write2_b64 v76, v[26:27], v[2:3] offset0:104 offset1:194
	;; [unrolled: 2-line block ×7, first 2 shown]
	ds_write2_b64 v57, v[4:5], v[24:25] offset1:90
	s_waitcnt vmcnt(12)
	ds_write2_b64 v82, v[44:45], v[12:13] offset0:160 offset1:250
	s_waitcnt vmcnt(10)
	ds_write2_b64 v83, v[46:47], v[14:15] offset0:84 offset1:174
	;; [unrolled: 2-line block ×7, first 2 shown]
.LBB0_13:
	s_or_b32 exec_lo, exec_lo, s1
	v_lshlrev_b32_e32 v57, 3, v56
	s_load_dwordx2 s[2:3], s[2:3], 0x0
	s_waitcnt lgkmcnt(0)
	s_barrier
	buffer_gl0_inv
	v_add_nc_u32_e32 v80, 0, v57
	s_add_u32 s1, s12, 0x5448
	s_addc_u32 s4, s13, 0
	s_mov_b32 s5, exec_lo
	v_add_nc_u32_e32 v98, 0x1800, v80
	v_add_nc_u32_e32 v61, 0x3800, v80
	v_add_nc_u32_e32 v12, 0x400, v80
	v_add_nc_u32_e32 v84, 0x2000, v80
	ds_read2_b64 v[0:3], v80 offset1:90
	ds_read2_b64 v[4:7], v98 offset0:132 offset1:222
	ds_read2_b64 v[8:11], v61 offset0:8 offset1:98
	v_add_nc_u32_e32 v85, 0x3c00, v80
	v_add_nc_u32_e32 v78, 0x800, v80
	ds_read2_b64 v[12:15], v12 offset0:52 offset1:142
	ds_read2_b64 v[16:19], v84 offset0:56 offset1:146
	;; [unrolled: 1-line block ×3, first 2 shown]
	v_add_nc_u32_e32 v86, 0x2400, v80
	v_add_nc_u32_e32 v87, 0x4000, v80
	ds_read2_b64 v[24:27], v78 offset0:104 offset1:194
	ds_read2_b64 v[28:31], v86 offset0:108 offset1:198
	;; [unrolled: 1-line block ×3, first 2 shown]
	v_add_nc_u32_e32 v79, 0x1000, v80
	v_add_nc_u32_e32 v89, 0x2800, v80
	;; [unrolled: 1-line block ×5, first 2 shown]
	s_waitcnt lgkmcnt(7)
	v_add_f32_e32 v36, v0, v4
	s_waitcnt lgkmcnt(6)
	v_add_f32_e32 v48, v4, v8
	v_sub_f32_e32 v49, v5, v9
	v_add_f32_e32 v37, v1, v5
	v_add_f32_e32 v50, v5, v9
	v_sub_f32_e32 v51, v4, v8
	v_add_f32_e32 v4, v2, v6
	v_add_f32_e32 v5, v3, v7
	;; [unrolled: 1-line block ×3, first 2 shown]
	v_sub_f32_e32 v53, v7, v11
	v_add_f32_e32 v54, v7, v11
	v_sub_f32_e32 v55, v6, v10
	s_waitcnt lgkmcnt(4)
	v_add_f32_e32 v6, v12, v16
	v_add_f32_e32 v42, v4, v10
	;; [unrolled: 1-line block ×6, first 2 shown]
	s_waitcnt lgkmcnt(3)
	v_add_f32_e32 v72, v16, v20
	v_add_f32_e32 v40, v36, v8
	;; [unrolled: 1-line block ×3, first 2 shown]
	v_sub_f32_e32 v73, v17, v21
	v_add_f32_e32 v74, v17, v21
	v_sub_f32_e32 v75, v16, v20
	v_add_f32_e32 v76, v18, v22
	;; [unrolled: 2-line block ×4, first 2 shown]
	v_add_f32_e32 v45, v4, v21
	v_add_f32_e32 v46, v5, v22
	;; [unrolled: 1-line block ×3, first 2 shown]
	s_waitcnt lgkmcnt(1)
	v_add_f32_e32 v20, v24, v28
	v_add_f32_e32 v21, v25, v29
	ds_read2_b64 v[4:7], v79 offset0:28 offset1:118
	ds_read2_b64 v[8:11], v89 offset0:160 offset1:250
	;; [unrolled: 1-line block ×3, first 2 shown]
	v_add_nc_u32_e32 v22, 0x1400, v80
	s_waitcnt lgkmcnt(3)
	v_add_f32_e32 v83, v28, v32
	v_sub_f32_e32 v91, v29, v33
	v_add_f32_e32 v93, v29, v33
	v_sub_f32_e32 v94, v28, v32
	v_add_f32_e32 v95, v26, v30
	v_add_f32_e32 v96, v30, v34
	v_sub_f32_e32 v97, v31, v35
	v_add_f32_e32 v99, v27, v31
	;; [unrolled: 3-line block ×3, first 2 shown]
	v_add_f32_e32 v33, v21, v33
	ds_read2_b64 v[20:23], v22 offset0:80 offset1:170
	ds_read2_b64 v[28:31], v92 offset0:84 offset1:174
	;; [unrolled: 1-line block ×3, first 2 shown]
	v_add_f32_e32 v34, v95, v34
	v_add_f32_e32 v35, v99, v35
	v_fma_f32 v0, -0.5, v48, v0
	v_fma_f32 v1, -0.5, v50, v1
	s_waitcnt lgkmcnt(4)
	v_add_f32_e32 v95, v4, v8
	s_waitcnt lgkmcnt(3)
	v_add_f32_e32 v99, v8, v16
	v_add_f32_e32 v103, v5, v9
	v_sub_f32_e32 v105, v8, v16
	v_add_f32_e32 v106, v6, v10
	v_add_f32_e32 v109, v7, v11
	;; [unrolled: 1-line block ×3, first 2 shown]
	v_sub_f32_e32 v102, v9, v17
	v_add_f32_e32 v104, v9, v17
	v_add_f32_e32 v107, v10, v18
	v_sub_f32_e32 v108, v11, v19
	v_add_f32_e32 v110, v11, v19
	v_sub_f32_e32 v111, v10, v18
	v_add_f32_e32 v9, v103, v17
	s_waitcnt lgkmcnt(1)
	v_add_f32_e32 v16, v20, v28
	v_add_f32_e32 v10, v106, v18
	;; [unrolled: 1-line block ×3, first 2 shown]
	s_waitcnt lgkmcnt(0)
	v_add_f32_e32 v95, v28, v36
	v_sub_f32_e32 v103, v29, v37
	v_add_f32_e32 v17, v21, v29
	v_add_f32_e32 v106, v29, v37
	v_sub_f32_e32 v109, v28, v36
	v_add_f32_e32 v16, v16, v36
	v_fmamk_f32 v28, v49, 0x3f5db3d7, v0
	v_fmamk_f32 v29, v51, 0xbf5db3d7, v1
	v_mad_u32_u24 v36, v56, 24, 0
	v_fma_f32 v2, -0.5, v52, v2
	v_fmac_f32_e32 v3, -0.5, v54
	v_fmac_f32_e32 v0, 0xbf5db3d7, v49
	v_fmac_f32_e32 v1, 0x3f5db3d7, v51
	v_fma_f32 v12, -0.5, v72, v12
	v_fma_f32 v13, -0.5, v74, v13
	s_barrier
	buffer_gl0_inv
	ds_write2_b64 v36, v[40:41], v[28:29] offset1:1
	ds_write_b64 v36, v[0:1] offset:16
	v_fmamk_f32 v0, v53, 0x3f5db3d7, v2
	v_fmamk_f32 v1, v55, 0xbf5db3d7, v3
	v_mad_i32_i24 v36, v60, 24, 0
	v_add_f32_e32 v17, v17, v37
	v_fmac_f32_e32 v2, 0xbf5db3d7, v53
	v_fmac_f32_e32 v3, 0x3f5db3d7, v55
	v_fmamk_f32 v28, v73, 0x3f5db3d7, v12
	v_fmamk_f32 v29, v75, 0xbf5db3d7, v13
	v_mad_i32_i24 v37, v71, 24, 0
	v_fma_f32 v14, -0.5, v76, v14
	v_fmac_f32_e32 v15, -0.5, v81
	ds_write2_b64 v36, v[42:43], v[0:1] offset1:1
	ds_write_b64 v36, v[2:3] offset:16
	v_fmac_f32_e32 v12, 0xbf5db3d7, v73
	v_fmac_f32_e32 v13, 0x3f5db3d7, v75
	v_fma_f32 v2, -0.5, v83, v24
	v_fma_f32 v3, -0.5, v93, v25
	ds_write2_b64 v37, v[44:45], v[28:29] offset1:1
	v_fmamk_f32 v0, v77, 0x3f5db3d7, v14
	v_fmamk_f32 v1, v82, 0xbf5db3d7, v15
	v_mad_i32_i24 v28, v70, 24, 0
	v_fmac_f32_e32 v14, 0xbf5db3d7, v77
	v_fmac_f32_e32 v15, 0x3f5db3d7, v82
	ds_write_b64 v37, v[12:13] offset:16
	ds_write2_b64 v28, v[46:47], v[0:1] offset1:1
	ds_write_b64 v28, v[14:15] offset:16
	v_fmamk_f32 v0, v91, 0x3f5db3d7, v2
	v_fmamk_f32 v1, v94, 0xbf5db3d7, v3
	v_mad_i32_i24 v14, v69, 24, 0
	v_fmac_f32_e32 v2, 0xbf5db3d7, v91
	v_fmac_f32_e32 v3, 0x3f5db3d7, v94
	v_fma_f32 v26, -0.5, v96, v26
	v_fmac_f32_e32 v27, -0.5, v100
	ds_write2_b64 v14, v[32:33], v[0:1] offset1:1
	ds_write_b64 v14, v[2:3] offset:16
	v_fma_f32 v0, -0.5, v99, v4
	v_fma_f32 v1, -0.5, v104, v5
	v_fmamk_f32 v12, v97, 0x3f5db3d7, v26
	v_fmamk_f32 v13, v101, 0xbf5db3d7, v27
	v_mad_i32_i24 v15, v68, 24, 0
	v_fma_f32 v6, -0.5, v107, v6
	v_fmac_f32_e32 v7, -0.5, v110
	v_fmac_f32_e32 v26, 0xbf5db3d7, v97
	v_fmac_f32_e32 v27, 0x3f5db3d7, v101
	v_fmamk_f32 v2, v102, 0x3f5db3d7, v0
	v_fmamk_f32 v3, v105, 0xbf5db3d7, v1
	v_mad_i32_i24 v81, v67, 24, 0
	v_and_b32_e32 v101, 0xff, v60
	v_fmac_f32_e32 v0, 0xbf5db3d7, v102
	v_fmac_f32_e32 v1, 0x3f5db3d7, v105
	ds_write2_b64 v15, v[34:35], v[12:13] offset1:1
	v_fmamk_f32 v4, v108, 0x3f5db3d7, v6
	v_fmamk_f32 v5, v111, 0xbf5db3d7, v7
	v_mad_i32_i24 v12, v66, 24, 0
	ds_write_b64 v15, v[26:27] offset:16
	ds_write2_b64 v81, v[8:9], v[2:3] offset1:1
	ds_write_b64 v81, v[0:1] offset:16
	ds_write2_b64 v12, v[10:11], v[4:5] offset1:1
	v_mul_lo_u16 v3, 0xab, v101
	v_mov_b32_e32 v5, 0xaaab
	v_fma_f32 v0, -0.5, v95, v20
	v_fmac_f32_e32 v6, 0xbf5db3d7, v108
	v_fmac_f32_e32 v7, 0x3f5db3d7, v111
	v_lshrrev_b16 v105, 9, v3
	v_mul_u32_u24_sdwa v9, v71, v5 dst_sel:DWORD dst_unused:UNUSED_PAD src0_sel:WORD_0 src1_sel:DWORD
	v_fma_f32 v1, -0.5, v106, v21
	v_fmamk_f32 v2, v103, 0x3f5db3d7, v0
	v_fmac_f32_e32 v0, 0xbf5db3d7, v103
	v_mul_lo_u16 v8, v105, 3
	v_lshrrev_b32_e32 v103, 17, v9
	v_fmamk_f32 v3, v109, 0xbf5db3d7, v1
	ds_write_b64 v12, v[6:7] offset:16
	v_and_b32_e32 v102, 0xff, v56
	v_sub_nc_u16 v106, v60, v8
	v_mad_i32_i24 v8, v65, 24, 0
	v_mul_lo_u16 v7, v103, 3
	v_add_f32_e32 v112, v30, v38
	v_sub_f32_e32 v113, v31, v39
	v_add_f32_e32 v19, v23, v31
	v_add_f32_e32 v31, v31, v39
	v_fmac_f32_e32 v1, 0x3f5db3d7, v109
	v_mov_b32_e32 v100, 9
	ds_write2_b64 v8, v[16:17], v[2:3] offset1:1
	v_mul_lo_u16 v2, 0xab, v102
	v_sub_nc_u16 v104, v71, v7
	v_add_f32_e32 v18, v22, v30
	v_sub_f32_e32 v30, v30, v38
	v_fma_f32 v22, -0.5, v112, v22
	v_fmac_f32_e32 v23, -0.5, v31
	v_mul_u32_u24_sdwa v6, v106, v100 dst_sel:DWORD dst_unused:UNUSED_PAD src0_sel:BYTE_0 src1_sel:DWORD
	ds_write_b64 v8, v[0:1] offset:16
	v_lshrrev_b16 v107, 9, v2
	v_mul_u32_u24_sdwa v0, v104, v100 dst_sel:DWORD dst_unused:UNUSED_PAD src0_sel:WORD_0 src1_sel:DWORD
	v_add_f32_e32 v18, v18, v38
	v_add_f32_e32 v19, v19, v39
	v_fmamk_f32 v4, v113, 0x3f5db3d7, v22
	v_fmac_f32_e32 v22, 0xbf5db3d7, v113
	v_fmamk_f32 v5, v30, 0xbf5db3d7, v23
	v_mad_i32_i24 v82, v64, 24, 0
	v_fmac_f32_e32 v23, 0x3f5db3d7, v30
	v_lshlrev_b32_e32 v48, 3, v6
	v_mul_lo_u16 v1, v107, 3
	v_lshlrev_b32_e32 v49, 3, v0
	ds_write2_b64 v82, v[18:19], v[4:5] offset1:1
	ds_write_b64 v82, v[22:23] offset:16
	s_waitcnt lgkmcnt(0)
	s_barrier
	buffer_gl0_inv
	global_load_dwordx4 v[16:19], v48, s[12:13]
	v_sub_nc_u16 v108, v56, v1
	global_load_dwordx4 v[0:3], v49, s[12:13]
	v_lshlrev_b32_e32 v91, 4, v67
	v_lshlrev_b32_e32 v93, 4, v64
	v_lshl_add_u32 v83, v70, 3, 0
	v_mul_u32_u24_sdwa v4, v108, v100 dst_sel:DWORD dst_unused:UNUSED_PAD src0_sel:BYTE_0 src1_sel:DWORD
	v_lshl_add_u32 v97, v60, 3, 0
	v_sub_nc_u32_e32 v95, v81, v91
	v_sub_nc_u32_e32 v94, v82, v93
	v_lshl_add_u32 v96, v71, 3, 0
	v_lshlrev_b32_e32 v50, 3, v4
	s_clause 0xc
	global_load_dwordx4 v[4:7], v50, s[12:13]
	global_load_dwordx4 v[8:11], v50, s[12:13] offset:16
	global_load_dwordx4 v[12:15], v48, s[12:13] offset:16
	global_load_dwordx4 v[20:23], v49, s[12:13] offset:16
	global_load_dwordx4 v[28:31], v50, s[12:13] offset:32
	global_load_dwordx4 v[40:43], v48, s[12:13] offset:32
	global_load_dwordx4 v[32:35], v49, s[12:13] offset:32
	global_load_dwordx4 v[24:27], v50, s[12:13] offset:48
	global_load_dwordx4 v[36:39], v48, s[12:13] offset:48
	global_load_dwordx4 v[44:47], v49, s[12:13] offset:48
	global_load_dwordx2 v[74:75], v50, s[12:13] offset:64
	global_load_dwordx2 v[72:73], v48, s[12:13] offset:64
	global_load_dwordx2 v[76:77], v49, s[12:13] offset:64
	ds_read2_b64 v[52:55], v78 offset0:104 offset1:194
	ds_read2_b64 v[48:51], v79 offset0:118 offset1:208
	ds_read_b64 v[131:132], v95
	ds_read_b64 v[133:134], v94
	ds_read2_b64 v[111:114], v84 offset0:56 offset1:146
	ds_read_b64 v[127:128], v83
	ds_read2_b64 v[115:118], v98 offset0:132 offset1:222
	ds_read2_b64 v[119:122], v86 offset0:108 offset1:198
	s_waitcnt vmcnt(14) lgkmcnt(7)
	v_mul_f32_e32 v99, v53, v17
	v_mul_f32_e32 v109, v52, v17
	s_waitcnt lgkmcnt(6)
	v_mul_f32_e32 v17, v49, v19
	v_mul_f32_e32 v110, v48, v19
	s_waitcnt vmcnt(13)
	v_mul_f32_e32 v123, v55, v1
	v_mul_f32_e32 v1, v54, v1
	v_fma_f32 v52, v52, v16, -v99
	v_fmac_f32_e32 v109, v53, v16
	v_fma_f32 v135, v48, v18, -v17
	v_fmac_f32_e32 v110, v49, v18
	ds_read_b64 v[18:19], v97
	ds_read_b64 v[16:17], v96
	v_mul_f32_e32 v49, v51, v3
	v_mul_f32_e32 v48, v50, v3
	v_fma_f32 v3, v54, v0, -v123
	v_fmac_f32_e32 v1, v55, v0
	s_waitcnt vmcnt(12) lgkmcnt(4)
	v_mul_f32_e32 v0, v5, v128
	v_mul_f32_e32 v55, v5, v127
	ds_read2_b64 v[123:126], v92 offset0:84 offset1:174
	v_fma_f32 v5, v50, v2, -v49
	v_fmac_f32_e32 v48, v51, v2
	v_mul_f32_e32 v2, v132, v7
	v_fma_f32 v51, v4, v127, -v0
	v_fmac_f32_e32 v55, v4, v128
	ds_read2_b64 v[127:130], v89 offset0:160 offset1:250
	s_waitcnt vmcnt(10)
	v_mul_f32_e32 v4, v114, v15
	v_fma_f32 v136, v131, v6, -v2
	v_mul_f32_e32 v2, v112, v11
	v_mul_f32_e32 v50, v131, v7
	;; [unrolled: 1-line block ×6, first 2 shown]
	v_fma_f32 v141, v111, v10, -v2
	s_waitcnt lgkmcnt(5)
	v_mul_f32_e32 v2, v116, v13
	v_mul_f32_e32 v49, v115, v13
	v_fma_f32 v142, v113, v14, -v4
	s_waitcnt vmcnt(9)
	v_mul_f32_e32 v4, v118, v21
	s_waitcnt lgkmcnt(4)
	v_mul_f32_e32 v7, v120, v23
	v_fmac_f32_e32 v50, v132, v6
	v_fma_f32 v140, v133, v8, -v0
	v_fmac_f32_e32 v137, v134, v8
	v_fmac_f32_e32 v138, v112, v10
	ds_read2_b64 v[131:134], v61 offset0:8 offset1:98
	v_fmac_f32_e32 v139, v114, v14
	v_mul_f32_e32 v0, v117, v21
	v_fma_f32 v115, v115, v12, -v2
	v_fmac_f32_e32 v49, v116, v12
	ds_read2_b64 v[111:114], v87 offset0:112 offset1:202
	v_mul_f32_e32 v6, v119, v23
	v_fma_f32 v2, v117, v20, -v4
	s_waitcnt vmcnt(8)
	v_mul_f32_e32 v4, v122, v29
	v_mul_f32_e32 v116, v121, v29
	v_fma_f32 v8, v119, v22, -v7
	s_waitcnt lgkmcnt(3)
	v_mul_f32_e32 v7, v124, v31
	v_mul_f32_e32 v117, v123, v31
	v_fmac_f32_e32 v0, v118, v20
	v_fmac_f32_e32 v6, v120, v22
	ds_read2_b64 v[20:23], v85 offset0:60 offset1:150
	v_fma_f32 v118, v121, v28, -v4
	v_fmac_f32_e32 v116, v122, v28
	s_waitcnt vmcnt(7)
	v_mul_f32_e32 v4, v126, v43
	v_mul_f32_e32 v119, v125, v43
	v_fma_f32 v120, v123, v30, -v7
	v_fmac_f32_e32 v117, v124, v30
	ds_read2_b64 v[28:31], v88 offset0:36 offset1:126
	s_waitcnt lgkmcnt(4)
	v_mul_f32_e32 v7, v128, v41
	v_mul_f32_e32 v121, v127, v41
	v_fma_f32 v122, v125, v42, -v4
	v_fmac_f32_e32 v119, v126, v42
	s_waitcnt vmcnt(6)
	v_mul_f32_e32 v9, v130, v33
	v_fma_f32 v123, v127, v40, -v7
	v_fmac_f32_e32 v121, v128, v40
	ds_read2_b64 v[40:43], v90 offset0:88 offset1:178
	v_mul_f32_e32 v4, v129, v33
	s_waitcnt lgkmcnt(4)
	v_mul_f32_e32 v7, v132, v35
	v_mul_f32_e32 v10, v131, v35
	v_fma_f32 v9, v129, v32, -v9
	s_waitcnt vmcnt(5)
	v_mul_f32_e32 v11, v134, v25
	v_fmac_f32_e32 v4, v130, v32
	v_mul_f32_e32 v32, v133, v25
	s_waitcnt lgkmcnt(3)
	v_mul_f32_e32 v12, v112, v27
	v_mul_f32_e32 v27, v111, v27
	ds_read_b64 v[53:54], v80
	v_fma_f32 v13, v131, v34, -v7
	v_fmac_f32_e32 v10, v132, v34
	s_waitcnt vmcnt(4)
	v_mul_f32_e32 v15, v114, v39
	v_mul_f32_e32 v39, v113, v39
	s_waitcnt lgkmcnt(3)
	v_mul_f32_e32 v25, v21, v37
	v_fma_f32 v33, v133, v24, -v11
	v_fmac_f32_e32 v32, v134, v24
	s_waitcnt vmcnt(3)
	v_mul_f32_e32 v24, v23, v45
	v_mul_f32_e32 v7, v22, v45
	s_waitcnt lgkmcnt(2)
	v_mul_f32_e32 v34, v29, v47
	v_fma_f32 v35, v111, v26, -v12
	v_fmac_f32_e32 v27, v112, v26
	s_waitcnt vmcnt(2)
	v_mul_f32_e32 v26, v31, v75
	v_mul_f32_e32 v45, v30, v75
	;; [unrolled: 1-line block ×4, first 2 shown]
	s_waitcnt vmcnt(1) lgkmcnt(1)
	v_mul_f32_e32 v47, v41, v73
	v_mul_f32_e32 v73, v40, v73
	v_fma_f32 v75, v113, v38, -v15
	v_fmac_f32_e32 v39, v114, v38
	v_fma_f32 v38, v20, v36, -v25
	v_fma_f32 v20, v28, v46, -v34
	;; [unrolled: 1-line block ×3, first 2 shown]
	v_fmac_f32_e32 v45, v31, v74
	v_add_f32_e32 v30, v118, v33
	s_waitcnt vmcnt(0)
	v_mul_f32_e32 v11, v42, v77
	v_fmac_f32_e32 v37, v21, v36
	v_fma_f32 v12, v22, v44, -v24
	v_fmac_f32_e32 v14, v29, v46
	v_fmac_f32_e32 v73, v41, v72
	v_sub_f32_e32 v21, v136, v141
	v_sub_f32_e32 v22, v35, v120
	;; [unrolled: 1-line block ×4, first 2 shown]
	v_add_f32_e32 v29, v116, v32
	v_fma_f32 v30, -0.5, v30, v51
	v_sub_f32_e32 v41, v137, v45
	v_mul_f32_e32 v15, v43, v77
	v_fmac_f32_e32 v11, v43, v76
	v_add_f32_e32 v31, v21, v22
	v_add_f32_e32 v34, v25, v26
	v_fma_f32 v29, -0.5, v29, v55
	v_sub_f32_e32 v36, v140, v28
	v_sub_f32_e32 v21, v137, v116
	;; [unrolled: 1-line block ×3, first 2 shown]
	v_fmamk_f32 v26, v41, 0x3f737871, v30
	v_sub_f32_e32 v43, v116, v32
	v_fmac_f32_e32 v7, v23, v44
	v_fma_f32 v15, v42, v76, -v15
	v_fmamk_f32 v25, v36, 0xbf737871, v29
	v_sub_f32_e32 v42, v118, v33
	v_mov_b32_e32 v44, 0xf0
	v_add_f32_e32 v46, v21, v22
	v_mov_b32_e32 v99, 3
	v_fmac_f32_e32 v26, 0x3f167918, v43
	s_waitcnt lgkmcnt(0)
	v_add_f32_e32 v21, v53, v136
	v_fma_f32 v40, v40, v72, -v47
	v_sub_f32_e32 v23, v50, v138
	v_sub_f32_e32 v24, v27, v117
	v_fmac_f32_e32 v25, 0xbf167918, v42
	v_mul_u32_u24_sdwa v22, v107, v44 dst_sel:DWORD dst_unused:UNUSED_PAD src0_sel:WORD_0 src1_sel:DWORD
	v_lshlrev_b32_sdwa v47, v99, v108 dst_sel:DWORD dst_unused:UNUSED_PAD src0_sel:DWORD src1_sel:BYTE_0
	v_fmac_f32_e32 v26, 0x3e9e377a, v34
	v_add_f32_e32 v21, v21, v141
	v_fmac_f32_e32 v25, 0x3e9e377a, v46
	v_add_f32_e32 v72, v23, v24
	v_add3_u32 v47, 0, v22, v47
	v_mul_f32_e32 v76, 0xbf167918, v26
	v_add_f32_e32 v21, v21, v120
	v_add_f32_e32 v22, v141, v120
	;; [unrolled: 1-line block ×3, first 2 shown]
	v_mul_f32_e32 v74, 0x3f167918, v25
	v_fmac_f32_e32 v76, 0x3f4f1bbd, v25
	v_add_f32_e32 v25, v21, v35
	v_fma_f32 v77, -0.5, v22, v53
	v_add_f32_e32 v21, v138, v117
	v_add_f32_e32 v22, v23, v138
	;; [unrolled: 1-line block ×4, first 2 shown]
	v_sub_f32_e32 v113, v138, v117
	v_fma_f32 v108, -0.5, v21, v54
	v_sub_f32_e32 v107, v50, v27
	v_add_f32_e32 v21, v23, v118
	v_add_f32_e32 v23, v24, v116
	;; [unrolled: 1-line block ×3, first 2 shown]
	v_sub_f32_e32 v111, v136, v35
	v_sub_f32_e32 v124, v141, v120
	;; [unrolled: 1-line block ×4, first 2 shown]
	v_fma_f32 v53, -0.5, v24, v53
	v_add_f32_e32 v22, v22, v117
	v_add_f32_e32 v21, v21, v33
	;; [unrolled: 1-line block ×4, first 2 shown]
	v_fmamk_f32 v120, v113, 0xbf737871, v53
	v_fmac_f32_e32 v53, 0x3f737871, v113
	v_add_f32_e32 v125, v22, v27
	v_sub_f32_e32 v127, v138, v50
	v_add_f32_e32 v50, v50, v27
	v_fmac_f32_e32 v120, 0x3f167918, v107
	v_fmac_f32_e32 v53, 0xbf167918, v107
	v_sub_f32_e32 v27, v117, v27
	v_add_f32_e32 v117, v137, v45
	v_fmac_f32_e32 v74, 0x3f4f1bbd, v26
	v_fmac_f32_e32 v120, 0x3e9e377a, v35
	;; [unrolled: 1-line block ×3, first 2 shown]
	v_sub_f32_e32 v35, v118, v140
	v_add_f32_e32 v118, v140, v28
	v_fmac_f32_e32 v55, -0.5, v117
	v_add_f32_e32 v26, v21, v28
	v_add_f32_e32 v126, v23, v45
	v_fmac_f32_e32 v54, -0.5, v50
	v_fmac_f32_e32 v51, -0.5, v118
	v_sub_f32_e32 v28, v33, v28
	v_sub_f32_e32 v33, v116, v137
	;; [unrolled: 1-line block ×3, first 2 shown]
	v_fmamk_f32 v45, v42, 0x3f737871, v55
	v_fmamk_f32 v116, v43, 0xbf737871, v51
	v_fmac_f32_e32 v51, 0x3f737871, v43
	v_fmac_f32_e32 v55, 0xbf737871, v42
	;; [unrolled: 1-line block ×4, first 2 shown]
	v_fmamk_f32 v50, v124, 0x3f737871, v54
	v_fmac_f32_e32 v54, 0xbf737871, v124
	v_add_f32_e32 v28, v35, v28
	v_add_f32_e32 v32, v33, v32
	v_fmac_f32_e32 v45, 0xbf167918, v36
	v_fmac_f32_e32 v116, 0x3f167918, v41
	;; [unrolled: 1-line block ×4, first 2 shown]
	v_fmamk_f32 v112, v107, 0x3f737871, v77
	v_fmac_f32_e32 v77, 0xbf737871, v107
	v_fmac_f32_e32 v30, 0xbf167918, v43
	;; [unrolled: 1-line block ×3, first 2 shown]
	v_fmamk_f32 v114, v111, 0xbf737871, v108
	v_add_f32_e32 v27, v127, v27
	v_fmac_f32_e32 v50, 0xbf167918, v111
	v_fmac_f32_e32 v54, 0x3f167918, v111
	;; [unrolled: 1-line block ×14, first 2 shown]
	v_mul_f32_e32 v35, 0x3f737871, v45
	v_mul_f32_e32 v117, 0xbf737871, v116
	;; [unrolled: 1-line block ×4, first 2 shown]
	v_fmac_f32_e32 v112, 0x3e9e377a, v31
	v_fmac_f32_e32 v108, 0x3f167918, v124
	v_mul_f32_e32 v32, 0x3f4f1bbd, v30
	v_fmac_f32_e32 v77, 0x3e9e377a, v31
	v_mul_f32_e32 v31, 0x3f4f1bbd, v29
	v_fmac_f32_e32 v114, 0x3e9e377a, v72
	v_fmac_f32_e32 v35, 0x3e9e377a, v116
	;; [unrolled: 1-line block ×3, first 2 shown]
	v_fma_f32 v41, 0x3f737871, v55, -v27
	v_fma_f32 v42, 0xbf737871, v51, -v28
	v_fmac_f32_e32 v108, 0x3e9e377a, v72
	v_fma_f32 v43, 0x3f167918, v29, -v32
	v_fma_f32 v45, 0xbf167918, v30, -v31
	v_add_f32_e32 v21, v25, v26
	v_add_f32_e32 v22, v125, v126
	;; [unrolled: 1-line block ×8, first 2 shown]
	v_sub_f32_e32 v25, v25, v26
	v_sub_f32_e32 v26, v125, v126
	v_add_f32_e32 v33, v77, v43
	v_add_f32_e32 v34, v108, v45
	v_sub_f32_e32 v31, v112, v74
	v_sub_f32_e32 v32, v114, v76
	;; [unrolled: 1-line block ×4, first 2 shown]
	s_barrier
	buffer_gl0_inv
	ds_write2_b64 v47, v[21:22], v[23:24] offset1:3
	ds_write2_b64 v47, v[27:28], v[29:30] offset0:6 offset1:9
	ds_write2_b64 v47, v[33:34], v[25:26] offset0:12 offset1:15
	ds_write2_b64 v47, v[31:32], v[35:36] offset0:18 offset1:21
	v_add_f32_e32 v23, v121, v37
	v_sub_f32_e32 v24, v115, v123
	v_add_f32_e32 v25, v123, v38
	v_sub_f32_e32 v27, v40, v38
	v_sub_f32_e32 v29, v115, v40
	v_fma_f32 v32, -0.5, v23, v109
	v_sub_f32_e32 v23, v49, v121
	v_sub_f32_e32 v26, v73, v37
	v_fma_f32 v33, -0.5, v25, v52
	v_sub_f32_e32 v30, v49, v73
	v_sub_f32_e32 v28, v135, v142
	v_add_f32_e32 v36, v24, v27
	v_sub_f32_e32 v27, v75, v122
	v_add_f32_e32 v46, v18, v135
	v_fmamk_f32 v25, v29, 0xbf737871, v32
	v_sub_f32_e32 v31, v123, v38
	v_add_f32_e32 v34, v23, v26
	v_fmamk_f32 v26, v30, 0x3f737871, v33
	v_sub_f32_e32 v35, v121, v37
	v_sub_f32_e32 v24, v108, v45
	v_add_f32_e32 v45, v28, v27
	v_add_f32_e32 v27, v46, v142
	v_fmac_f32_e32 v25, 0xbf167918, v31
	v_fmac_f32_e32 v26, 0x3f167918, v35
	v_sub_f32_e32 v22, v54, v42
	v_sub_f32_e32 v21, v53, v41
	v_add_f32_e32 v27, v27, v122
	v_fmac_f32_e32 v25, 0x3e9e377a, v34
	v_sub_f32_e32 v41, v110, v139
	v_sub_f32_e32 v42, v39, v119
	v_fmac_f32_e32 v26, 0x3e9e377a, v36
	v_add_f32_e32 v28, v142, v122
	v_add_f32_e32 v51, v27, v75
	;; [unrolled: 1-line block ×4, first 2 shown]
	v_sub_f32_e32 v23, v77, v43
	v_mul_f32_e32 v43, 0x3f167918, v25
	v_add_f32_e32 v41, v41, v42
	v_mul_f32_e32 v42, 0xbf167918, v26
	v_fma_f32 v46, -0.5, v28, v18
	v_add_f32_e32 v28, v19, v110
	v_fma_f32 v77, -0.5, v27, v19
	v_add_f32_e32 v27, v76, v121
	v_fmac_f32_e32 v43, 0x3f4f1bbd, v26
	v_mul_u32_u24_sdwa v26, v105, v44 dst_sel:DWORD dst_unused:UNUSED_PAD src0_sel:WORD_0 src1_sel:DWORD
	v_lshlrev_b32_sdwa v44, v99, v106 dst_sel:DWORD dst_unused:UNUSED_PAD src0_sel:DWORD src1_sel:BYTE_0
	v_fmac_f32_e32 v42, 0x3f4f1bbd, v25
	v_add_f32_e32 v25, v28, v139
	v_add_f32_e32 v27, v27, v37
	v_sub_f32_e32 v55, v135, v75
	v_add3_u32 v44, 0, v26, v44
	v_add_f32_e32 v26, v52, v115
	v_sub_f32_e32 v74, v122, v75
	v_add_f32_e32 v75, v135, v75
	v_add_f32_e32 v25, v25, v119
	;; [unrolled: 1-line block ×5, first 2 shown]
	v_sub_f32_e32 v50, v110, v39
	v_add_f32_e32 v26, v26, v123
	v_fma_f32 v18, -0.5, v75, v18
	v_add_f32_e32 v75, v25, v39
	v_sub_f32_e32 v76, v139, v110
	v_add_f32_e32 v25, v110, v39
	v_sub_f32_e32 v39, v119, v39
	v_fmac_f32_e32 v109, -0.5, v27
	v_fmac_f32_e32 v52, -0.5, v108
	v_add_f32_e32 v26, v26, v38
	v_sub_f32_e32 v38, v38, v40
	v_add_f32_e32 v39, v76, v39
	v_sub_f32_e32 v76, v123, v115
	v_sub_f32_e32 v49, v121, v49
	;; [unrolled: 1-line block ×3, first 2 shown]
	v_fmamk_f32 v73, v31, 0x3f737871, v109
	v_fmamk_f32 v108, v35, 0xbf737871, v52
	v_fmac_f32_e32 v52, 0x3f737871, v35
	v_fmac_f32_e32 v109, 0xbf737871, v31
	;; [unrolled: 1-line block ×4, first 2 shown]
	v_sub_f32_e32 v28, v142, v135
	v_sub_f32_e32 v54, v139, v119
	;; [unrolled: 1-line block ×3, first 2 shown]
	v_fmac_f32_e32 v19, -0.5, v25
	v_add_f32_e32 v37, v49, v37
	v_fmac_f32_e32 v73, 0xbf167918, v29
	v_add_f32_e32 v38, v76, v38
	v_fmac_f32_e32 v108, 0x3f167918, v30
	v_fmac_f32_e32 v52, 0xbf167918, v30
	;; [unrolled: 1-line block ×5, first 2 shown]
	v_fmamk_f32 v53, v50, 0x3f737871, v46
	v_add_f32_e32 v28, v28, v74
	v_fmamk_f32 v74, v55, 0xbf737871, v77
	v_fmamk_f32 v105, v54, 0xbf737871, v18
	v_fmac_f32_e32 v18, 0x3f737871, v54
	v_add_f32_e32 v106, v26, v40
	v_fmamk_f32 v40, v72, 0x3f737871, v19
	v_fmac_f32_e32 v19, 0xbf737871, v72
	v_fmac_f32_e32 v73, 0x3e9e377a, v37
	v_fmac_f32_e32 v108, 0x3e9e377a, v38
	v_fmac_f32_e32 v52, 0x3e9e377a, v38
	v_fmac_f32_e32 v109, 0x3e9e377a, v37
	v_fmac_f32_e32 v46, 0xbf737871, v50
	v_fmac_f32_e32 v77, 0x3f737871, v55
	v_fmac_f32_e32 v33, 0x3e9e377a, v36
	v_fmac_f32_e32 v32, 0x3e9e377a, v34
	v_fmac_f32_e32 v53, 0x3f167918, v54
	v_fmac_f32_e32 v74, 0xbf167918, v72
	v_fmac_f32_e32 v105, 0x3f167918, v50
	v_fmac_f32_e32 v18, 0xbf167918, v50
	v_fmac_f32_e32 v40, 0xbf167918, v55
	v_fmac_f32_e32 v19, 0x3f167918, v55
	v_mul_f32_e32 v49, 0x3f737871, v73
	v_mul_f32_e32 v76, 0xbf737871, v108
	;; [unrolled: 1-line block ×4, first 2 shown]
	v_fmac_f32_e32 v46, 0xbf167918, v54
	v_fmac_f32_e32 v77, 0x3f167918, v72
	v_mul_f32_e32 v34, 0x3f4f1bbd, v33
	v_mul_f32_e32 v35, 0x3f4f1bbd, v32
	v_fmac_f32_e32 v53, 0x3e9e377a, v45
	v_fmac_f32_e32 v74, 0x3e9e377a, v41
	;; [unrolled: 1-line block ×8, first 2 shown]
	v_fma_f32 v73, 0x3f737871, v109, -v37
	v_fma_f32 v52, 0xbf737871, v52, -v38
	v_fmac_f32_e32 v46, 0x3e9e377a, v45
	v_fmac_f32_e32 v77, 0x3e9e377a, v41
	v_fma_f32 v41, 0x3f167918, v32, -v34
	v_fma_f32 v45, 0xbf167918, v33, -v35
	v_add_f32_e32 v25, v51, v106
	v_add_f32_e32 v26, v75, v107
	;; [unrolled: 1-line block ×8, first 2 shown]
	v_sub_f32_e32 v33, v51, v106
	v_sub_f32_e32 v34, v75, v107
	v_add_f32_e32 v35, v46, v41
	v_add_f32_e32 v36, v77, v45
	v_sub_f32_e32 v37, v53, v43
	v_sub_f32_e32 v38, v74, v42
	;; [unrolled: 1-line block ×4, first 2 shown]
	ds_write2_b64 v47, v[21:22], v[23:24] offset0:24 offset1:27
	ds_write2_b64 v44, v[25:26], v[27:28] offset1:3
	ds_write2_b64 v44, v[29:30], v[31:32] offset0:6 offset1:9
	ds_write2_b64 v44, v[35:36], v[33:34] offset0:12 offset1:15
	;; [unrolled: 1-line block ×3, first 2 shown]
	v_sub_f32_e32 v19, v19, v52
	v_sub_f32_e32 v18, v18, v73
	v_add_f32_e32 v23, v4, v7
	v_sub_f32_e32 v21, v46, v41
	v_sub_f32_e32 v22, v77, v45
	v_add_f32_e32 v37, v16, v5
	v_add_f32_e32 v24, v9, v12
	v_sub_f32_e32 v25, v2, v9
	v_fma_f32 v23, -0.5, v23, v1
	v_sub_f32_e32 v26, v2, v15
	v_sub_f32_e32 v27, v0, v4
	;; [unrolled: 1-line block ×4, first 2 shown]
	ds_write2_b64 v44, v[18:19], v[21:22] offset0:24 offset1:27
	v_add_f32_e32 v18, v37, v8
	v_fma_f32 v24, -0.5, v24, v3
	v_sub_f32_e32 v28, v0, v11
	v_fmamk_f32 v30, v26, 0xbf737871, v23
	v_sub_f32_e32 v31, v9, v12
	v_add_f32_e32 v27, v27, v29
	v_sub_f32_e32 v29, v5, v8
	v_add_f32_e32 v25, v25, v32
	v_sub_f32_e32 v32, v20, v13
	v_sub_f32_e32 v35, v48, v6
	;; [unrolled: 1-line block ×3, first 2 shown]
	v_mul_u32_u24_e32 v19, 0xf0, v103
	v_lshlrev_b32_sdwa v21, v99, v104 dst_sel:DWORD dst_unused:UNUSED_PAD src0_sel:DWORD src1_sel:WORD_0
	v_add_f32_e32 v18, v18, v13
	v_fmamk_f32 v33, v28, 0x3f737871, v24
	v_sub_f32_e32 v34, v4, v7
	v_fmac_f32_e32 v30, 0xbf167918, v31
	v_add_f32_e32 v22, v29, v32
	v_add_f32_e32 v29, v35, v36
	v_add3_u32 v35, 0, v19, v21
	v_add_f32_e32 v36, v18, v20
	v_add_f32_e32 v18, v6, v10
	;; [unrolled: 1-line block ×4, first 2 shown]
	v_fmac_f32_e32 v33, 0x3f167918, v34
	v_fmac_f32_e32 v30, 0x3e9e377a, v27
	v_fma_f32 v39, -0.5, v18, v17
	v_add_f32_e32 v18, v21, v9
	v_add_f32_e32 v21, v37, v4
	v_fmac_f32_e32 v33, 0x3e9e377a, v25
	v_mul_f32_e32 v38, 0x3f167918, v30
	v_sub_f32_e32 v42, v6, v10
	v_sub_f32_e32 v40, v5, v20
	v_add_f32_e32 v21, v21, v7
	v_mul_f32_e32 v32, 0xbf167918, v33
	v_fmac_f32_e32 v38, 0x3f4f1bbd, v33
	v_add_f32_e32 v33, v8, v13
	v_sub_f32_e32 v43, v8, v13
	v_add_f32_e32 v46, v21, v11
	v_add_f32_e32 v21, v5, v20
	v_fmac_f32_e32 v32, 0x3f4f1bbd, v30
	v_add_f32_e32 v30, v17, v48
	v_fma_f32 v33, -0.5, v33, v16
	v_sub_f32_e32 v5, v8, v5
	v_fma_f32 v16, -0.5, v21, v16
	v_sub_f32_e32 v8, v13, v20
	v_add_f32_e32 v19, v30, v6
	v_sub_f32_e32 v30, v48, v14
	v_sub_f32_e32 v6, v6, v48
	v_fmamk_f32 v13, v42, 0xbf737871, v16
	v_fmac_f32_e32 v16, 0x3f737871, v42
	v_add_f32_e32 v19, v19, v10
	v_add_f32_e32 v5, v5, v8
	;; [unrolled: 1-line block ×3, first 2 shown]
	v_fmac_f32_e32 v13, 0x3f167918, v30
	v_fmac_f32_e32 v16, 0xbf167918, v30
	v_sub_f32_e32 v10, v10, v14
	v_fmac_f32_e32 v24, 0xbf737871, v28
	v_fmac_f32_e32 v17, -0.5, v8
	v_fmac_f32_e32 v13, 0x3e9e377a, v5
	v_fmac_f32_e32 v16, 0x3e9e377a, v5
	v_add_f32_e32 v5, v6, v10
	v_sub_f32_e32 v6, v9, v2
	v_add_f32_e32 v8, v0, v11
	v_add_f32_e32 v2, v2, v15
	v_sub_f32_e32 v10, v12, v15
	v_sub_f32_e32 v0, v4, v0
	;; [unrolled: 1-line block ×3, first 2 shown]
	v_fmac_f32_e32 v1, -0.5, v8
	v_fmac_f32_e32 v3, -0.5, v2
	v_add_f32_e32 v2, v6, v10
	v_fmamk_f32 v9, v43, 0x3f737871, v17
	v_add_f32_e32 v0, v0, v4
	v_fmamk_f32 v6, v31, 0x3f737871, v1
	v_fmamk_f32 v7, v34, 0xbf737871, v3
	v_fmac_f32_e32 v3, 0x3f737871, v34
	v_fmac_f32_e32 v1, 0xbf737871, v31
	;; [unrolled: 1-line block ×13, first 2 shown]
	v_mul_f32_e32 v8, 0x3f737871, v6
	v_mul_f32_e32 v10, 0xbf737871, v7
	;; [unrolled: 1-line block ×4, first 2 shown]
	v_fmac_f32_e32 v9, 0x3e9e377a, v5
	v_fmac_f32_e32 v17, 0x3e9e377a, v5
	;; [unrolled: 1-line block ×4, first 2 shown]
	v_fma_f32 v4, 0x3f737871, v1, -v0
	v_fma_f32 v5, 0xbf737871, v3, -v2
	v_fmac_f32_e32 v23, 0x3f737871, v26
	v_add_f32_e32 v0, v13, v8
	v_add_f32_e32 v1, v9, v10
	;; [unrolled: 1-line block ×4, first 2 shown]
	v_fmac_f32_e32 v24, 0xbf167918, v34
	v_fmac_f32_e32 v23, 0x3f167918, v31
	v_fmamk_f32 v41, v30, 0x3f737871, v33
	v_fmamk_f32 v37, v40, 0xbf737871, v39
	ds_write2_b64 v35, v[0:1], v[2:3] offset0:6 offset1:9
	v_mul_lo_u16 v2, 0x89, v101
	v_add_f32_e32 v18, v18, v12
	v_fmac_f32_e32 v33, 0xbf737871, v30
	v_fmac_f32_e32 v39, 0x3f737871, v40
	;; [unrolled: 1-line block ×4, first 2 shown]
	v_lshrrev_b16 v104, 12, v2
	v_mov_b32_e32 v6, 0x8889
	v_fmac_f32_e32 v41, 0x3f167918, v42
	v_fmac_f32_e32 v37, 0xbf167918, v43
	v_add_f32_e32 v44, v19, v14
	v_add_f32_e32 v45, v18, v15
	v_fmac_f32_e32 v33, 0xbf167918, v42
	v_fmac_f32_e32 v39, 0x3f167918, v43
	v_mul_f32_e32 v0, 0x3f4f1bbd, v24
	v_mul_f32_e32 v1, 0x3f4f1bbd, v23
	v_mul_lo_u16 v14, v104, 30
	v_mul_u32_u24_sdwa v15, v71, v6 dst_sel:DWORD dst_unused:UNUSED_PAD src0_sel:WORD_0 src1_sel:DWORD
	v_fmac_f32_e32 v41, 0x3e9e377a, v22
	v_fmac_f32_e32 v37, 0x3e9e377a, v29
	;; [unrolled: 1-line block ×4, first 2 shown]
	v_fma_f32 v11, 0x3f167918, v23, -v0
	v_fma_f32 v12, 0xbf167918, v24, -v1
	v_sub_nc_u16 v105, v60, v14
	v_lshrrev_b32_e32 v101, 20, v15
	v_add_f32_e32 v18, v36, v45
	v_add_f32_e32 v19, v44, v46
	;; [unrolled: 1-line block ×4, first 2 shown]
	v_sub_f32_e32 v0, v36, v45
	v_sub_f32_e32 v1, v44, v46
	v_add_f32_e32 v2, v33, v11
	v_add_f32_e32 v3, v39, v12
	v_sub_f32_e32 v8, v13, v8
	v_sub_f32_e32 v9, v9, v10
	;; [unrolled: 1-line block ×3, first 2 shown]
	v_mul_u32_u24_sdwa v13, v105, v100 dst_sel:DWORD dst_unused:UNUSED_PAD src0_sel:BYTE_0 src1_sel:DWORD
	v_sub_f32_e32 v11, v39, v12
	v_mul_lo_u16 v12, v101, 30
	v_sub_f32_e32 v6, v41, v38
	v_sub_f32_e32 v7, v37, v32
	ds_write2_b64 v35, v[18:19], v[20:21] offset1:3
	v_sub_f32_e32 v5, v17, v5
	v_sub_f32_e32 v4, v16, v4
	ds_write2_b64 v35, v[2:3], v[0:1] offset0:12 offset1:15
	ds_write2_b64 v35, v[6:7], v[8:9] offset0:18 offset1:21
	v_lshlrev_b32_e32 v44, 3, v13
	v_mul_lo_u16 v0, 0x89, v102
	v_sub_nc_u16 v102, v71, v12
	ds_write2_b64 v35, v[4:5], v[10:11] offset0:24 offset1:27
	s_waitcnt lgkmcnt(0)
	s_barrier
	v_lshrrev_b16 v110, 12, v0
	v_mul_u32_u24_sdwa v0, v102, v100 dst_sel:DWORD dst_unused:UNUSED_PAD src0_sel:WORD_0 src1_sel:DWORD
	buffer_gl0_inv
	global_load_dwordx4 v[48:51], v44, s[12:13] offset:216
	v_mul_lo_u16 v1, v110, 30
	v_lshlrev_b32_e32 v45, 3, v0
	v_sub_nc_u16 v111, v56, v1
	global_load_dwordx4 v[8:11], v45, s[12:13] offset:216
	v_mul_u32_u24_sdwa v0, v111, v100 dst_sel:DWORD dst_unused:UNUSED_PAD src0_sel:BYTE_0 src1_sel:DWORD
	v_lshlrev_b32_e32 v46, 3, v0
	s_clause 0xc
	global_load_dwordx4 v[4:7], v46, s[12:13] offset:216
	global_load_dwordx4 v[0:3], v46, s[12:13] offset:232
	;; [unrolled: 1-line block ×10, first 2 shown]
	global_load_dwordx2 v[72:73], v46, s[12:13] offset:280
	global_load_dwordx2 v[54:55], v44, s[12:13] offset:280
	;; [unrolled: 1-line block ×3, first 2 shown]
	ds_read2_b64 v[112:115], v78 offset0:104 offset1:194
	ds_read2_b64 v[44:47], v79 offset0:118 offset1:208
	ds_read_b64 v[74:75], v83
	ds_read_b64 v[78:79], v94
	s_waitcnt vmcnt(14) lgkmcnt(3)
	v_mul_f32_e32 v76, v113, v49
	v_mul_f32_e32 v106, v112, v49
	s_waitcnt lgkmcnt(2)
	v_mul_f32_e32 v49, v45, v51
	v_mul_f32_e32 v108, v44, v51
	v_fma_f32 v107, v112, v48, -v76
	ds_read_b64 v[76:77], v95
	v_fmac_f32_e32 v106, v113, v48
	s_waitcnt vmcnt(13)
	v_mul_f32_e32 v48, v115, v9
	v_mul_f32_e32 v100, v114, v9
	v_fma_f32 v109, v44, v50, -v49
	v_fmac_f32_e32 v108, v45, v50
	v_mul_f32_e32 v9, v47, v11
	v_fma_f32 v103, v114, v8, -v48
	ds_read2_b64 v[48:51], v84 offset0:56 offset1:146
	v_fmac_f32_e32 v100, v115, v8
	v_mul_f32_e32 v11, v46, v11
	v_fma_f32 v46, v46, v10, -v9
	ds_read_b64 v[44:45], v97
	ds_read_b64 v[8:9], v96
	;; [unrolled: 1-line block ×3, first 2 shown]
	ds_read2_b64 v[112:115], v98 offset0:132 offset1:222
	s_waitcnt vmcnt(12) lgkmcnt(7)
	v_mul_f32_e32 v116, v5, v75
	v_mul_f32_e32 v122, v5, v74
	s_waitcnt vmcnt(11) lgkmcnt(6)
	v_mul_f32_e32 v126, v1, v78
	v_fmac_f32_e32 v11, v47, v10
	v_fma_f32 v124, v4, v74, -v116
	s_waitcnt lgkmcnt(5)
	v_mul_f32_e32 v5, v7, v77
	v_mul_f32_e32 v123, v7, v76
	v_fmac_f32_e32 v122, v4, v75
	v_mul_f32_e32 v4, v1, v79
	v_fmac_f32_e32 v126, v0, v79
	v_fma_f32 v125, v6, v76, -v5
	v_fmac_f32_e32 v123, v6, v77
	ds_read2_b64 v[74:77], v86 offset0:108 offset1:198
	s_waitcnt lgkmcnt(5)
	v_mul_f32_e32 v1, v49, v3
	v_fma_f32 v78, v0, v78, -v4
	s_waitcnt vmcnt(10)
	v_mul_f32_e32 v0, v51, v15
	v_mul_f32_e32 v79, v50, v15
	ds_read2_b64 v[116:119], v92 offset0:84 offset1:174
	v_fma_f32 v128, v48, v2, -v1
	s_waitcnt lgkmcnt(2)
	v_mul_f32_e32 v1, v113, v13
	v_mul_f32_e32 v129, v112, v13
	v_mul_f32_e32 v127, v48, v3
	v_fma_f32 v130, v50, v14, -v0
	v_fmac_f32_e32 v79, v51, v14
	s_waitcnt vmcnt(9)
	v_mul_f32_e32 v0, v115, v17
	v_fma_f32 v51, v112, v12, -v1
	v_fmac_f32_e32 v129, v113, v12
	ds_read2_b64 v[12:15], v89 offset0:160 offset1:250
	v_fmac_f32_e32 v127, v49, v2
	v_mul_f32_e32 v1, v114, v17
	v_fma_f32 v2, v114, v16, -v0
	ds_read2_b64 v[47:50], v85 offset0:60 offset1:150
	s_waitcnt lgkmcnt(3)
	v_mul_f32_e32 v3, v75, v19
	v_mul_f32_e32 v0, v74, v19
	v_fmac_f32_e32 v1, v115, v16
	s_waitcnt vmcnt(8)
	v_mul_f32_e32 v4, v77, v21
	v_mul_f32_e32 v112, v76, v21
	v_fma_f32 v5, v74, v18, -v3
	v_fmac_f32_e32 v0, v75, v18
	ds_read2_b64 v[16:19], v61 offset0:8 offset1:98
	s_waitcnt lgkmcnt(3)
	v_mul_f32_e32 v3, v117, v23
	v_mul_f32_e32 v75, v116, v23
	v_fma_f32 v74, v76, v20, -v4
	s_waitcnt vmcnt(7)
	v_mul_f32_e32 v4, v119, v27
	v_fmac_f32_e32 v112, v77, v20
	v_fma_f32 v76, v116, v22, -v3
	v_mul_f32_e32 v77, v118, v27
	v_fmac_f32_e32 v75, v117, v22
	ds_read2_b64 v[20:23], v87 offset0:112 offset1:202
	s_waitcnt lgkmcnt(3)
	v_mul_f32_e32 v3, v13, v25
	v_mul_f32_e32 v114, v12, v25
	v_fma_f32 v113, v118, v26, -v4
	v_fmac_f32_e32 v77, v119, v26
	s_waitcnt vmcnt(6)
	v_mul_f32_e32 v6, v15, v29
	v_fma_f32 v115, v12, v24, -v3
	v_fmac_f32_e32 v114, v13, v24
	ds_read2_b64 v[24:27], v88 offset0:36 offset1:126
	v_mul_f32_e32 v4, v14, v29
	v_fma_f32 v6, v14, v28, -v6
	s_waitcnt lgkmcnt(2)
	v_mul_f32_e32 v7, v17, v31
	v_mul_f32_e32 v3, v16, v31
	s_waitcnt vmcnt(5)
	v_mul_f32_e32 v10, v19, v33
	v_fmac_f32_e32 v4, v15, v28
	v_mul_f32_e32 v33, v18, v33
	v_fma_f32 v12, v16, v30, -v7
	v_fmac_f32_e32 v3, v17, v30
	ds_read2_b64 v[28:31], v90 offset0:88 offset1:178
	v_fma_f32 v17, v18, v32, -v10
	s_waitcnt lgkmcnt(2)
	v_mul_f32_e32 v7, v21, v35
	v_fmac_f32_e32 v33, v19, v32
	v_mul_f32_e32 v18, v20, v35
	s_waitcnt vmcnt(4)
	v_mul_f32_e32 v10, v23, v39
	v_mul_f32_e32 v35, v22, v39
	v_fma_f32 v19, v20, v34, -v7
	v_mul_f32_e32 v7, v48, v37
	v_fmac_f32_e32 v18, v21, v34
	s_waitcnt vmcnt(2) lgkmcnt(1)
	v_mul_f32_e32 v15, v27, v73
	v_mul_f32_e32 v34, v47, v37
	v_fma_f32 v37, v22, v38, -v10
	v_fmac_f32_e32 v35, v23, v38
	v_fma_f32 v38, v47, v36, -v7
	v_mul_f32_e32 v14, v25, v43
	v_mul_f32_e32 v7, v24, v43
	;; [unrolled: 1-line block ×3, first 2 shown]
	v_fma_f32 v21, v26, v72, -v15
	v_add_f32_e32 v23, v112, v33
	v_fmac_f32_e32 v34, v48, v36
	v_fma_f32 v16, v24, v42, -v14
	v_fmac_f32_e32 v7, v25, v42
	s_waitcnt vmcnt(1) lgkmcnt(0)
	v_mul_f32_e32 v15, v29, v55
	v_mul_f32_e32 v36, v28, v55
	v_fmac_f32_e32 v20, v27, v72
	s_waitcnt vmcnt(0)
	v_mul_f32_e32 v22, v31, v53
	v_add_f32_e32 v24, v74, v17
	v_fma_f32 v23, -0.5, v23, v122
	v_sub_f32_e32 v25, v78, v21
	v_mul_f32_e32 v13, v50, v41
	v_mul_f32_e32 v10, v49, v41
	;; [unrolled: 1-line block ×3, first 2 shown]
	v_fma_f32 v39, v28, v54, -v15
	v_fmac_f32_e32 v36, v29, v54
	v_fma_f32 v15, v30, v52, -v22
	v_sub_f32_e32 v26, v126, v112
	v_sub_f32_e32 v27, v20, v33
	v_fma_f32 v24, -0.5, v24, v124
	v_sub_f32_e32 v28, v126, v20
	v_fmamk_f32 v29, v25, 0xbf737871, v23
	v_sub_f32_e32 v30, v74, v17
	v_fma_f32 v13, v49, v40, -v13
	v_fmac_f32_e32 v10, v50, v40
	v_sub_f32_e32 v22, v78, v74
	v_sub_f32_e32 v32, v21, v17
	v_add_f32_e32 v26, v26, v27
	v_fmamk_f32 v27, v28, 0x3f737871, v24
	v_sub_f32_e32 v40, v112, v33
	v_fmac_f32_e32 v29, 0xbf167918, v30
	v_add_f32_e32 v22, v22, v32
	v_fmac_f32_e32 v14, v31, v52
	v_sub_f32_e32 v31, v125, v128
	v_fmac_f32_e32 v27, 0x3f167918, v40
	v_fmac_f32_e32 v29, 0x3e9e377a, v26
	v_sub_f32_e32 v32, v19, v76
	v_sub_f32_e32 v41, v123, v127
	;; [unrolled: 1-line block ×3, first 2 shown]
	v_fmac_f32_e32 v27, 0x3e9e377a, v22
	v_mul_f32_e32 v43, 0x3f167918, v29
	v_mov_b32_e32 v47, 0x960
	v_add_f32_e32 v31, v31, v32
	v_add_f32_e32 v32, v120, v125
	;; [unrolled: 1-line block ×3, first 2 shown]
	v_mul_f32_e32 v42, 0xbf167918, v27
	v_fmac_f32_e32 v43, 0x3f4f1bbd, v27
	v_add_f32_e32 v27, v121, v123
	v_add_f32_e32 v52, v125, v19
	v_mul_u32_u24_sdwa v48, v110, v47 dst_sel:DWORD dst_unused:UNUSED_PAD src0_sel:WORD_0 src1_sel:DWORD
	v_lshlrev_b32_sdwa v49, v99, v111 dst_sel:DWORD dst_unused:UNUSED_PAD src0_sel:DWORD src1_sel:BYTE_0
	v_add_f32_e32 v32, v32, v128
	v_add_f32_e32 v27, v27, v127
	v_sub_f32_e32 v50, v128, v125
	v_sub_f32_e32 v53, v76, v19
	;; [unrolled: 1-line block ×3, first 2 shown]
	v_fma_f32 v52, -0.5, v52, v120
	v_fmac_f32_e32 v42, 0x3f4f1bbd, v29
	v_add3_u32 v48, 0, v48, v49
	v_add_f32_e32 v29, v32, v76
	v_add_f32_e32 v32, v128, v76
	v_sub_f32_e32 v49, v128, v76
	v_add_f32_e32 v27, v27, v75
	v_add_f32_e32 v50, v50, v53
	v_sub_f32_e32 v53, v123, v18
	v_fmamk_f32 v55, v54, 0xbf737871, v52
	v_fmac_f32_e32 v52, 0x3f737871, v54
	v_add_f32_e32 v76, v124, v78
	v_add_f32_e32 v27, v27, v18
	;; [unrolled: 1-line block ×3, first 2 shown]
	v_fmac_f32_e32 v55, 0x3f167918, v53
	v_fmac_f32_e32 v52, 0xbf167918, v53
	v_add_f32_e32 v110, v123, v18
	v_sub_f32_e32 v18, v75, v18
	v_add_f32_e32 v75, v76, v74
	v_sub_f32_e32 v73, v127, v123
	v_fmac_f32_e32 v55, 0x3e9e377a, v50
	v_fmac_f32_e32 v52, 0x3e9e377a, v50
	v_fma_f32 v50, -0.5, v72, v121
	v_add_f32_e32 v72, v75, v17
	v_add_f32_e32 v75, v122, v126
	;; [unrolled: 1-line block ×3, first 2 shown]
	v_sub_f32_e32 v73, v74, v78
	v_add_f32_e32 v74, v78, v21
	v_add_f32_e32 v72, v72, v21
	;; [unrolled: 1-line block ×4, first 2 shown]
	v_sub_f32_e32 v17, v17, v21
	v_fmac_f32_e32 v124, -0.5, v74
	v_sub_f32_e32 v74, v112, v126
	v_add_f32_e32 v21, v75, v33
	v_fmac_f32_e32 v122, -0.5, v76
	v_add_f32_e32 v17, v73, v17
	v_fmac_f32_e32 v24, 0xbf737871, v28
	v_fmac_f32_e32 v23, 0x3f737871, v25
	v_add_f32_e32 v75, v21, v20
	v_sub_f32_e32 v20, v33, v20
	v_fmamk_f32 v33, v40, 0xbf737871, v124
	v_fmamk_f32 v21, v30, 0x3f737871, v122
	v_fmac_f32_e32 v124, 0x3f737871, v40
	v_fmac_f32_e32 v122, 0xbf737871, v30
	v_add_f32_e32 v29, v29, v19
	v_fmac_f32_e32 v33, 0x3f167918, v28
	v_sub_f32_e32 v19, v125, v19
	v_fma_f32 v73, -0.5, v32, v120
	v_fmac_f32_e32 v121, -0.5, v110
	v_add_f32_e32 v20, v74, v20
	v_fmac_f32_e32 v21, 0xbf167918, v25
	v_fmac_f32_e32 v124, 0xbf167918, v28
	;; [unrolled: 1-line block ×6, first 2 shown]
	v_fmamk_f32 v76, v53, 0x3f737871, v73
	v_fmamk_f32 v110, v19, 0xbf737871, v50
	;; [unrolled: 1-line block ×3, first 2 shown]
	v_fmac_f32_e32 v121, 0xbf737871, v49
	v_fmac_f32_e32 v21, 0x3e9e377a, v20
	;; [unrolled: 1-line block ×3, first 2 shown]
	v_mul_f32_e32 v74, 0xbf737871, v33
	v_fmac_f32_e32 v122, 0x3e9e377a, v20
	v_fmac_f32_e32 v73, 0xbf737871, v53
	;; [unrolled: 1-line block ×9, first 2 shown]
	v_mul_f32_e32 v32, 0x3f737871, v21
	v_fmac_f32_e32 v74, 0x3e9e377a, v21
	v_mul_f32_e32 v20, 0x3e9e377a, v124
	v_mul_f32_e32 v21, 0x3e9e377a, v122
	v_fmac_f32_e32 v73, 0xbf167918, v54
	v_fmac_f32_e32 v50, 0x3f167918, v49
	v_mul_f32_e32 v25, 0x3f4f1bbd, v24
	v_mul_f32_e32 v26, 0x3f4f1bbd, v23
	v_fmac_f32_e32 v76, 0x3e9e377a, v31
	v_fmac_f32_e32 v110, 0x3e9e377a, v41
	;; [unrolled: 1-line block ×5, first 2 shown]
	v_fma_f32 v33, 0x3f737871, v122, -v20
	v_fma_f32 v40, 0xbf737871, v124, -v21
	v_fmac_f32_e32 v73, 0x3e9e377a, v31
	v_fmac_f32_e32 v50, 0x3e9e377a, v41
	v_fma_f32 v41, 0x3f167918, v23, -v25
	v_fma_f32 v49, 0xbf167918, v24, -v26
	v_add_f32_e32 v17, v29, v72
	v_add_f32_e32 v18, v27, v75
	;; [unrolled: 1-line block ×8, first 2 shown]
	v_sub_f32_e32 v25, v29, v72
	v_sub_f32_e32 v26, v27, v75
	v_add_f32_e32 v27, v73, v41
	v_add_f32_e32 v28, v50, v49
	v_sub_f32_e32 v29, v76, v43
	v_sub_f32_e32 v30, v110, v42
	;; [unrolled: 1-line block ×4, first 2 shown]
	s_barrier
	buffer_gl0_inv
	ds_write2_b64 v48, v[17:18], v[19:20] offset1:30
	ds_write2_b64 v48, v[21:22], v[23:24] offset0:60 offset1:90
	ds_write2_b64 v48, v[27:28], v[25:26] offset0:120 offset1:150
	;; [unrolled: 1-line block ×3, first 2 shown]
	v_add_f32_e32 v22, v115, v38
	v_add_f32_e32 v21, v114, v34
	v_sub_f32_e32 v26, v129, v36
	v_sub_f32_e32 v23, v51, v115
	v_sub_f32_e32 v25, v51, v39
	v_fma_f32 v29, -0.5, v22, v107
	v_fma_f32 v28, -0.5, v21, v106
	v_sub_f32_e32 v30, v39, v38
	v_sub_f32_e32 v32, v114, v34
	;; [unrolled: 1-line block ×3, first 2 shown]
	v_fmamk_f32 v31, v26, 0x3f737871, v29
	v_sub_f32_e32 v22, v36, v34
	v_fmamk_f32 v24, v25, 0xbf737871, v28
	v_sub_f32_e32 v27, v115, v38
	v_add_f32_e32 v30, v23, v30
	v_fmac_f32_e32 v31, 0x3f167918, v32
	v_sub_f32_e32 v17, v52, v33
	v_sub_f32_e32 v19, v73, v41
	v_add_f32_e32 v33, v21, v22
	v_fmac_f32_e32 v24, 0xbf167918, v27
	v_sub_f32_e32 v21, v109, v130
	v_sub_f32_e32 v22, v37, v113
	v_fmac_f32_e32 v31, 0x3e9e377a, v30
	v_add_f32_e32 v41, v44, v109
	v_sub_f32_e32 v18, v121, v40
	v_fmac_f32_e32 v24, 0x3e9e377a, v33
	v_sub_f32_e32 v23, v108, v79
	v_sub_f32_e32 v40, v35, v77
	v_add_nc_u32_e32 v43, 0x400, v48
	v_add_f32_e32 v48, v21, v22
	v_add_f32_e32 v21, v41, v130
	v_mul_f32_e32 v41, 0xbf167918, v31
	v_mul_f32_e32 v42, 0x3f167918, v24
	v_add_f32_e32 v40, v23, v40
	v_mul_u32_u24_sdwa v22, v104, v47 dst_sel:DWORD dst_unused:UNUSED_PAD src0_sel:WORD_0 src1_sel:DWORD
	v_lshlrev_b32_sdwa v23, v99, v105 dst_sel:DWORD dst_unused:UNUSED_PAD src0_sel:DWORD src1_sel:BYTE_0
	v_fmac_f32_e32 v41, 0x3f4f1bbd, v24
	v_add_f32_e32 v24, v45, v108
	v_add_f32_e32 v21, v21, v113
	v_sub_f32_e32 v20, v50, v49
	v_add3_u32 v47, 0, v22, v23
	v_add_f32_e32 v23, v107, v51
	v_add_f32_e32 v22, v24, v79
	;; [unrolled: 1-line block ×5, first 2 shown]
	v_fmac_f32_e32 v42, 0x3f4f1bbd, v31
	v_add_f32_e32 v22, v22, v77
	v_add_f32_e32 v31, v130, v113
	v_fma_f32 v52, -0.5, v21, v45
	v_add_f32_e32 v21, v23, v115
	v_add_f32_e32 v23, v24, v114
	;; [unrolled: 1-line block ×4, first 2 shown]
	v_fma_f32 v50, -0.5, v31, v44
	v_sub_f32_e32 v55, v79, v77
	v_add_f32_e32 v23, v23, v34
	v_sub_f32_e32 v31, v108, v35
	v_fma_f32 v44, -0.5, v22, v44
	v_sub_f32_e32 v53, v109, v37
	v_sub_f32_e32 v24, v113, v37
	v_add_f32_e32 v76, v23, v36
	v_sub_f32_e32 v23, v130, v109
	v_fmamk_f32 v37, v55, 0xbf737871, v44
	v_fmac_f32_e32 v44, 0x3f737871, v55
	v_add_f32_e32 v104, v108, v35
	v_sub_f32_e32 v35, v77, v35
	v_add_f32_e32 v78, v23, v24
	v_fmac_f32_e32 v37, 0x3f167918, v31
	v_fmac_f32_e32 v44, 0xbf167918, v31
	v_add_f32_e32 v77, v129, v36
	v_sub_f32_e32 v73, v130, v113
	v_add_f32_e32 v21, v21, v38
	v_fmac_f32_e32 v37, 0x3e9e377a, v78
	v_fmac_f32_e32 v44, 0x3e9e377a, v78
	v_add_f32_e32 v78, v51, v39
	v_fmac_f32_e32 v106, -0.5, v77
	v_fmac_f32_e32 v45, -0.5, v104
	v_sub_f32_e32 v51, v115, v51
	v_sub_f32_e32 v38, v38, v39
	v_fmac_f32_e32 v107, -0.5, v78
	v_sub_f32_e32 v77, v114, v129
	v_sub_f32_e32 v34, v34, v36
	v_fmamk_f32 v36, v27, 0x3f737871, v106
	v_fmac_f32_e32 v106, 0xbf737871, v27
	v_fmamk_f32 v78, v32, 0xbf737871, v107
	v_fmac_f32_e32 v107, 0x3f737871, v32
	v_fmac_f32_e32 v29, 0xbf737871, v26
	;; [unrolled: 1-line block ×3, first 2 shown]
	v_add_f32_e32 v75, v21, v39
	v_sub_f32_e32 v79, v79, v108
	v_fmamk_f32 v39, v73, 0x3f737871, v45
	v_fmac_f32_e32 v45, 0xbf737871, v73
	v_add_f32_e32 v34, v77, v34
	v_fmac_f32_e32 v36, 0xbf167918, v25
	v_add_f32_e32 v38, v51, v38
	v_fmac_f32_e32 v78, 0x3f167918, v26
	v_fmac_f32_e32 v107, 0xbf167918, v26
	;; [unrolled: 1-line block ×5, first 2 shown]
	v_fmamk_f32 v54, v31, 0x3f737871, v50
	v_fmamk_f32 v72, v53, 0xbf737871, v52
	v_add_f32_e32 v35, v79, v35
	v_fmac_f32_e32 v39, 0xbf167918, v53
	v_fmac_f32_e32 v36, 0x3e9e377a, v34
	;; [unrolled: 1-line block ×12, first 2 shown]
	v_mul_f32_e32 v51, 0x3f737871, v36
	v_fmac_f32_e32 v39, 0x3e9e377a, v35
	v_fmac_f32_e32 v45, 0x3e9e377a, v35
	v_mul_f32_e32 v38, 0xbf737871, v78
	v_mul_f32_e32 v34, 0x3e9e377a, v107
	;; [unrolled: 1-line block ×3, first 2 shown]
	v_fmac_f32_e32 v50, 0xbf167918, v55
	v_fmac_f32_e32 v52, 0x3f167918, v73
	v_mul_f32_e32 v30, 0x3f4f1bbd, v29
	v_mul_f32_e32 v31, 0x3f4f1bbd, v28
	v_fmac_f32_e32 v54, 0x3e9e377a, v48
	v_fmac_f32_e32 v72, 0x3e9e377a, v40
	;; [unrolled: 1-line block ×4, first 2 shown]
	v_fma_f32 v77, 0x3f737871, v106, -v34
	v_fma_f32 v78, 0xbf737871, v107, -v35
	v_fmac_f32_e32 v50, 0x3e9e377a, v48
	v_fmac_f32_e32 v52, 0x3e9e377a, v40
	v_fma_f32 v40, 0x3f167918, v28, -v30
	v_fma_f32 v48, 0xbf167918, v29, -v31
	v_add_f32_e32 v21, v49, v75
	v_add_f32_e32 v22, v74, v76
	;; [unrolled: 1-line block ×8, first 2 shown]
	v_sub_f32_e32 v29, v49, v75
	v_sub_f32_e32 v30, v74, v76
	v_add_f32_e32 v31, v50, v40
	v_add_f32_e32 v32, v52, v48
	v_sub_f32_e32 v33, v54, v42
	v_sub_f32_e32 v34, v72, v41
	;; [unrolled: 1-line block ×4, first 2 shown]
	ds_write2_b64 v43, v[17:18], v[19:20] offset0:112 offset1:142
	ds_write2_b64 v47, v[21:22], v[23:24] offset1:30
	ds_write2_b64 v47, v[25:26], v[27:28] offset0:60 offset1:90
	ds_write2_b64 v47, v[31:32], v[29:30] offset0:120 offset1:150
	;; [unrolled: 1-line block ×3, first 2 shown]
	v_add_f32_e32 v21, v4, v10
	v_add_f32_e32 v22, v6, v13
	v_sub_f32_e32 v25, v2, v15
	v_sub_f32_e32 v27, v1, v14
	;; [unrolled: 1-line block ×3, first 2 shown]
	v_fma_f32 v24, -0.5, v21, v100
	v_sub_f32_e32 v21, v1, v4
	v_fma_f32 v26, -0.5, v22, v103
	v_sub_f32_e32 v22, v14, v10
	v_add_f32_e32 v35, v8, v46
	v_fmamk_f32 v28, v25, 0xbf737871, v24
	v_sub_f32_e32 v23, v2, v6
	v_sub_f32_e32 v30, v15, v13
	v_add_f32_e32 v33, v21, v22
	v_sub_f32_e32 v21, v46, v5
	v_sub_f32_e32 v22, v16, v12
	v_fmamk_f32 v31, v27, 0x3f737871, v26
	v_sub_f32_e32 v32, v4, v10
	v_fmac_f32_e32 v28, 0xbf167918, v29
	v_add_f32_e32 v23, v23, v30
	v_add_f32_e32 v38, v21, v22
	;; [unrolled: 1-line block ×3, first 2 shown]
	v_fmac_f32_e32 v31, 0x3f167918, v32
	v_fmac_f32_e32 v28, 0x3e9e377a, v33
	v_sub_f32_e32 v19, v50, v40
	v_add_nc_u32_e32 v37, 0x400, v47
	v_add_f32_e32 v21, v21, v12
	v_add_f32_e32 v35, v5, v12
	v_sub_f32_e32 v47, v5, v12
	v_sub_f32_e32 v50, v5, v46
	;; [unrolled: 1-line block ×3, first 2 shown]
	v_fmac_f32_e32 v31, 0x3e9e377a, v23
	v_mul_f32_e32 v36, 0x3f167918, v28
	v_add_f32_e32 v39, v21, v16
	v_add_f32_e32 v21, v0, v3
	;; [unrolled: 1-line block ×4, first 2 shown]
	v_sub_f32_e32 v43, v46, v16
	v_add_f32_e32 v16, v46, v16
	v_add_f32_e32 v46, v2, v15
	;; [unrolled: 1-line block ×4, first 2 shown]
	v_sub_f32_e32 v30, v11, v0
	v_sub_f32_e32 v34, v7, v3
	v_fmac_f32_e32 v36, 0x3f4f1bbd, v31
	v_mul_f32_e32 v31, 0xbf167918, v31
	v_fma_f32 v42, -0.5, v21, v9
	v_add_f32_e32 v21, v40, v6
	v_add_f32_e32 v41, v41, v4
	v_fmac_f32_e32 v103, -0.5, v46
	v_fmac_f32_e32 v100, -0.5, v50
	v_add_f32_e32 v30, v30, v34
	v_mul_u32_u24_e32 v22, 0x960, v101
	v_lshlrev_b32_sdwa v34, v99, v102 dst_sel:DWORD dst_unused:UNUSED_PAD src0_sel:DWORD src1_sel:WORD_0
	v_fmac_f32_e32 v31, 0x3f4f1bbd, v28
	v_add_f32_e32 v28, v9, v11
	v_add_f32_e32 v21, v21, v13
	;; [unrolled: 1-line block ×4, first 2 shown]
	v_sub_f32_e32 v2, v6, v2
	v_sub_f32_e32 v6, v13, v15
	;; [unrolled: 1-line block ×4, first 2 shown]
	v_fmamk_f32 v10, v32, 0xbf737871, v103
	v_fmac_f32_e32 v103, 0x3f737871, v32
	v_fmamk_f32 v13, v29, 0x3f737871, v100
	v_fmac_f32_e32 v100, 0xbf737871, v29
	v_add3_u32 v34, 0, v22, v34
	v_fma_f32 v35, -0.5, v35, v8
	v_add_f32_e32 v22, v28, v0
	v_sub_f32_e32 v28, v11, v7
	v_sub_f32_e32 v40, v0, v3
	v_add_f32_e32 v41, v41, v14
	v_fmac_f32_e32 v9, -0.5, v51
	v_add_f32_e32 v14, v2, v6
	v_add_f32_e32 v1, v1, v4
	v_fmac_f32_e32 v103, 0xbf167918, v27
	v_fmac_f32_e32 v100, 0x3f167918, v25
	v_fma_f32 v4, -0.5, v16, v8
	v_fmac_f32_e32 v13, 0xbf167918, v25
	v_fmac_f32_e32 v10, 0x3f167918, v27
	;; [unrolled: 1-line block ×3, first 2 shown]
	v_sub_f32_e32 v18, v45, v78
	v_sub_f32_e32 v17, v44, v77
	v_fmamk_f32 v44, v28, 0x3f737871, v35
	v_fmamk_f32 v45, v43, 0xbf737871, v42
	v_fmac_f32_e32 v24, 0x3f737871, v25
	v_sub_f32_e32 v20, v52, v48
	v_add_f32_e32 v48, v21, v15
	v_sub_f32_e32 v0, v0, v11
	v_sub_f32_e32 v2, v3, v7
	v_fmac_f32_e32 v103, 0x3e9e377a, v14
	v_fmac_f32_e32 v100, 0x3e9e377a, v1
	v_fmamk_f32 v15, v47, 0x3f737871, v9
	v_fmac_f32_e32 v9, 0xbf737871, v47
	v_fmamk_f32 v16, v40, 0xbf737871, v4
	v_fmac_f32_e32 v4, 0x3f737871, v40
	v_fmac_f32_e32 v13, 0x3e9e377a, v1
	;; [unrolled: 1-line block ×4, first 2 shown]
	v_add_f32_e32 v22, v22, v3
	v_fmac_f32_e32 v44, 0x3f167918, v40
	v_fmac_f32_e32 v45, 0xbf167918, v47
	;; [unrolled: 1-line block ×3, first 2 shown]
	v_add_f32_e32 v0, v0, v2
	v_mul_f32_e32 v2, 0x3e9e377a, v100
	v_fmac_f32_e32 v9, 0x3f167918, v43
	v_mul_f32_e32 v3, 0x3e9e377a, v103
	v_fmac_f32_e32 v4, 0xbf167918, v28
	v_fmac_f32_e32 v16, 0x3f167918, v28
	v_mul_f32_e32 v1, 0x3f737871, v13
	v_fmac_f32_e32 v15, 0xbf167918, v43
	v_mul_f32_e32 v14, 0xbf737871, v10
	v_fmac_f32_e32 v26, 0x3e9e377a, v23
	v_add_f32_e32 v49, v22, v7
	v_fmac_f32_e32 v44, 0x3e9e377a, v38
	v_fmac_f32_e32 v45, 0x3e9e377a, v30
	v_fmac_f32_e32 v35, 0xbf737871, v28
	v_fmac_f32_e32 v42, 0x3f737871, v43
	v_fmac_f32_e32 v24, 0x3e9e377a, v33
	v_fma_f32 v2, 0xbf737871, v103, -v2
	v_fmac_f32_e32 v9, 0x3e9e377a, v0
	v_fma_f32 v7, 0x3f737871, v100, -v3
	v_fmac_f32_e32 v4, 0x3e9e377a, v12
	v_fmac_f32_e32 v16, 0x3e9e377a, v12
	;; [unrolled: 1-line block ×5, first 2 shown]
	v_mul_f32_e32 v0, 0x3f4f1bbd, v26
	v_add_f32_e32 v21, v39, v48
	v_add_f32_e32 v22, v49, v41
	v_add_f32_e32 v5, v44, v36
	v_add_f32_e32 v6, v45, v31
	v_fmac_f32_e32 v35, 0xbf167918, v40
	v_fmac_f32_e32 v42, 0x3f167918, v47
	v_mul_f32_e32 v13, 0x3f4f1bbd, v24
	ds_write2_b64 v37, v[17:18], v[19:20] offset0:112 offset1:142
	ds_write2_b64 v34, v[21:22], v[5:6] offset1:30
	v_add_f32_e32 v3, v9, v2
	v_sub_f32_e32 v5, v9, v2
	v_add_f32_e32 v2, v4, v7
	v_add_f32_e32 v10, v16, v1
	;; [unrolled: 1-line block ×3, first 2 shown]
	v_sub_f32_e32 v12, v16, v1
	v_fma_f32 v16, 0x3f167918, v24, -v0
	v_lshlrev_b32_e32 v0, 1, v56
	v_mov_b32_e32 v1, 0
	v_fmac_f32_e32 v35, 0x3e9e377a, v38
	v_fmac_f32_e32 v42, 0x3e9e377a, v30
	v_fma_f32 v17, 0xbf167918, v26, -v13
	ds_write2_b64 v34, v[10:11], v[2:3] offset0:60 offset1:90
	v_lshlrev_b64 v[2:3], 3, v[0:1]
	v_sub_f32_e32 v4, v4, v7
	v_sub_f32_e32 v6, v39, v48
	;; [unrolled: 1-line block ×4, first 2 shown]
	v_add_f32_e32 v14, v35, v16
	v_add_f32_e32 v15, v42, v17
	v_sub_f32_e32 v8, v44, v36
	v_sub_f32_e32 v9, v45, v31
	v_add_co_u32 v2, s0, s12, v2
	v_add_co_ci_u32_e64 v3, s0, s13, v3, s0
	v_sub_f32_e32 v10, v35, v16
	v_sub_f32_e32 v11, v42, v17
	ds_write2_b64 v34, v[14:15], v[6:7] offset0:120 offset1:150
	ds_write2_b64 v34, v[8:9], v[12:13] offset0:180 offset1:210
	v_add_nc_u32_e32 v8, 0x400, v34
	v_lshlrev_b32_e32 v6, 1, v60
	v_mov_b32_e32 v7, v1
	v_add_co_u32 v13, s0, 0x800, v2
	v_add_co_ci_u32_e64 v14, s0, 0, v3, s0
	ds_write2_b64 v8, v[4:5], v[10:11] offset0:112 offset1:142
	v_subrev_nc_u32_e32 v8, 30, v56
	v_cmp_gt_u32_e64 s0, 30, v56
	v_lshlrev_b64 v[4:5], 3, v[6:7]
	v_lshlrev_b32_e32 v7, 1, v71
	v_mov_b32_e32 v6, v1
	s_waitcnt lgkmcnt(0)
	v_cndmask_b32_e64 v12, v8, v70, s0
	v_mov_b32_e32 v8, v1
	v_add_co_u32 v4, s0, s12, v4
	v_add_co_ci_u32_e64 v9, s0, s13, v5, s0
	v_lshlrev_b32_e32 v5, 1, v12
	v_add_co_u32 v10, s0, 0x800, v4
	v_lshlrev_b64 v[15:16], 3, v[7:8]
	v_add_co_ci_u32_e64 v11, s0, 0, v9, s0
	v_lshlrev_b64 v[21:22], 3, v[5:6]
	s_barrier
	buffer_gl0_inv
	s_clause 0x1
	global_load_dwordx4 v[5:8], v[13:14], off offset:328
	global_load_dwordx4 v[17:20], v[10:11], off offset:328
	v_add_co_u32 v10, s0, s12, v15
	v_add_co_ci_u32_e64 v11, s0, s13, v16, s0
	v_add_co_u32 v21, s0, s12, v21
	v_add_co_ci_u32_e64 v22, s0, s13, v22, s0
	;; [unrolled: 2-line block ×3, first 2 shown]
	v_add_co_u32 v25, s0, 0x800, v21
	v_add_nc_u32_e32 v15, 0x78, v0
	v_add_nc_u32_e32 v0, 0x12c, v0
	v_lshrrev_b16 v29, 2, v67
	v_mov_b32_e32 v37, 0x6d3b
	v_add_co_ci_u32_e64 v26, s0, 0, v22, s0
	v_mov_b32_e32 v16, v1
	s_clause 0x1
	global_load_dwordx4 v[21:24], v[13:14], off offset:328
	global_load_dwordx4 v[25:28], v[25:26], off offset:328
	v_lshlrev_b64 v[13:14], 3, v[0:1]
	v_mul_u32_u24_sdwa v0, v29, v37 dst_sel:DWORD dst_unused:UNUSED_PAD src0_sel:WORD_0 src1_sel:DWORD
	v_lshrrev_b16 v29, 2, v66
	v_lshlrev_b64 v[15:16], 3, v[15:16]
	v_lshrrev_b16 v32, 2, v65
	v_mov_b32_e32 v31, 4
	v_lshrrev_b32_e32 v0, 21, v0
	v_mul_u32_u24_sdwa v29, v29, v37 dst_sel:DWORD dst_unused:UNUSED_PAD src0_sel:WORD_0 src1_sel:DWORD
	v_lshlrev_b32_e32 v12, 3, v12
	v_add_co_u32 v15, s0, s12, v15
	v_add_co_ci_u32_e64 v16, s0, s13, v16, s0
	v_lshrrev_b32_e32 v29, 21, v29
	v_add_co_u32 v13, s0, s12, v13
	v_add_co_ci_u32_e64 v30, s0, s13, v14, s0
	v_mul_lo_u16 v14, 0x12c, v0
	v_add_co_u32 v15, s0, 0x800, v15
	v_mul_lo_u16 v29, 0x12c, v29
	v_add_co_ci_u32_e64 v16, s0, 0, v16, s0
	v_add_co_u32 v33, s0, 0x800, v13
	v_sub_nc_u16 v14, v67, v14
	v_add_co_ci_u32_e64 v34, s0, 0, v30, s0
	v_sub_nc_u16 v38, v66, v29
	v_mul_u32_u24_sdwa v39, v32, v37 dst_sel:DWORD dst_unused:UNUSED_PAD src0_sel:WORD_0 src1_sel:DWORD
	v_lshlrev_b32_sdwa v13, v31, v14 dst_sel:DWORD dst_unused:UNUSED_PAD src0_sel:DWORD src1_sel:WORD_0
	s_clause 0x1
	global_load_dwordx4 v[29:32], v[15:16], off offset:328
	global_load_dwordx4 v[33:36], v[33:34], off offset:328
	v_lshrrev_b16 v15, 2, v64
	v_and_b32_e32 v16, 0xffff, v38
	v_lshrrev_b32_e32 v38, 21, v39
	v_add_co_u32 v13, s0, s12, v13
	v_mul_u32_u24_sdwa v15, v15, v37 dst_sel:DWORD dst_unused:UNUSED_PAD src0_sel:WORD_0 src1_sel:DWORD
	v_add_co_ci_u32_e64 v39, null, s13, 0, s0
	v_mul_lo_u16 v41, 0x12c, v38
	v_add_co_u32 v37, s0, 0x800, v13
	v_lshrrev_b32_e32 v13, 21, v15
	v_lshlrev_b32_e32 v40, 4, v16
	v_sub_nc_u16 v15, v65, v41
	v_add_co_ci_u32_e64 v38, s0, 0, v39, s0
	v_mul_lo_u16 v13, 0x12c, v13
	v_add_co_u32 v39, s0, s12, v40
	v_and_b32_e32 v15, 0xffff, v15
	v_add_co_ci_u32_e64 v40, null, s13, 0, s0
	v_sub_nc_u16 v13, v64, v13
	v_add_co_u32 v41, s0, 0x800, v39
	v_lshlrev_b32_e32 v45, 4, v15
	v_add_co_ci_u32_e64 v42, s0, 0, v40, s0
	v_and_b32_e32 v13, 0xffff, v13
	s_clause 0x1
	global_load_dwordx4 v[37:40], v[37:38], off offset:328
	global_load_dwordx4 v[41:44], v[41:42], off offset:328
	v_add_co_u32 v45, s0, s12, v45
	v_add_co_ci_u32_e64 v46, null, s13, 0, s0
	v_lshlrev_b32_e32 v47, 4, v13
	v_add_co_u32 v45, s0, 0x800, v45
	v_add_co_ci_u32_e64 v46, s0, 0, v46, s0
	v_add_co_u32 v49, s0, s12, v47
	v_add_co_ci_u32_e64 v50, null, s13, 0, s0
	global_load_dwordx4 v[45:48], v[45:46], off offset:328
	v_add_co_u32 v49, s0, 0x800, v49
	v_add_co_ci_u32_e64 v50, s0, 0, v50, s0
	v_cmp_lt_u32_e64 s0, 29, v56
	v_lshlrev_b32_sdwa v14, v99, v14 dst_sel:DWORD dst_unused:UNUSED_PAD src0_sel:DWORD src1_sel:WORD_0
	v_mul_u32_u24_e32 v0, 0x1c20, v0
	global_load_dwordx4 v[49:52], v[49:50], off offset:328
	ds_read2_b64 v[72:75], v98 offset0:132 offset1:222
	ds_read2_b64 v[76:79], v61 offset0:8 offset1:98
	;; [unrolled: 1-line block ×4, first 2 shown]
	v_add3_u32 v0, 0, v0, v14
	s_waitcnt vmcnt(9) lgkmcnt(3)
	v_mul_f32_e32 v53, v6, v73
	v_mul_f32_e32 v54, v6, v72
	s_waitcnt lgkmcnt(2)
	v_mul_f32_e32 v6, v8, v77
	v_mul_f32_e32 v55, v8, v76
	s_waitcnt vmcnt(8)
	v_mul_f32_e32 v98, v74, v18
	v_fma_f32 v53, v5, v72, -v53
	v_fmac_f32_e32 v54, v5, v73
	v_mul_f32_e32 v5, v75, v18
	v_fma_f32 v76, v7, v76, -v6
	v_fmac_f32_e32 v55, v7, v77
	v_fmac_f32_e32 v98, v75, v17
	v_mul_f32_e32 v18, v79, v20
	v_fma_f32 v108, v74, v17, -v5
	ds_read2_b64 v[5:8], v86 offset0:108 offset1:198
	ds_read2_b64 v[72:75], v87 offset0:112 offset1:202
	v_mul_f32_e32 v77, v78, v20
	v_fma_f32 v78, v78, v19, -v18
	v_fmac_f32_e32 v77, v79, v19
	s_waitcnt vmcnt(7) lgkmcnt(3)
	v_mul_f32_e32 v17, v101, v22
	v_mul_f32_e32 v109, v100, v22
	s_waitcnt lgkmcnt(2)
	v_mul_f32_e32 v18, v105, v24
	v_mul_f32_e32 v79, v104, v24
	v_fma_f32 v100, v100, v21, -v17
	s_waitcnt vmcnt(6)
	v_mul_f32_e32 v17, v103, v26
	v_fmac_f32_e32 v109, v101, v21
	v_fma_f32 v101, v104, v23, -v18
	v_mul_f32_e32 v104, v102, v26
	v_mul_f32_e32 v21, v107, v28
	v_fma_f32 v102, v102, v25, -v17
	ds_read2_b64 v[17:20], v89 offset0:160 offset1:250
	v_fmac_f32_e32 v79, v105, v23
	v_mul_f32_e32 v105, v106, v28
	v_fmac_f32_e32 v104, v103, v25
	v_fma_f32 v103, v106, v27, -v21
	ds_read2_b64 v[21:24], v88 offset0:36 offset1:126
	v_fmac_f32_e32 v105, v107, v27
	s_waitcnt vmcnt(5) lgkmcnt(3)
	v_mul_f32_e32 v25, v6, v30
	v_mul_f32_e32 v106, v5, v30
	s_waitcnt lgkmcnt(2)
	v_mul_f32_e32 v26, v73, v32
	v_mul_f32_e32 v110, v72, v32
	s_waitcnt vmcnt(4)
	v_mul_f32_e32 v111, v7, v34
	v_fma_f32 v107, v5, v29, -v25
	v_fmac_f32_e32 v106, v6, v29
	v_fma_f32 v72, v72, v31, -v26
	v_mul_f32_e32 v5, v8, v34
	v_mul_f32_e32 v6, v75, v36
	ds_read2_b64 v[25:28], v92 offset0:84 offset1:174
	v_fmac_f32_e32 v110, v73, v31
	v_mul_f32_e32 v73, v74, v36
	v_fma_f32 v112, v7, v33, -v5
	v_fmac_f32_e32 v111, v8, v33
	v_fma_f32 v74, v74, v35, -v6
	ds_read2_b64 v[5:8], v90 offset0:88 offset1:178
	v_fmac_f32_e32 v73, v75, v35
	s_waitcnt vmcnt(3) lgkmcnt(3)
	v_mul_f32_e32 v29, v18, v38
	v_mul_f32_e32 v75, v17, v38
	s_waitcnt lgkmcnt(2)
	v_mul_f32_e32 v30, v22, v40
	v_mul_f32_e32 v113, v21, v40
	v_add_f32_e32 v40, v54, v55
	v_fma_f32 v114, v17, v37, -v29
	s_waitcnt vmcnt(2)
	v_mul_f32_e32 v17, v20, v42
	v_mul_f32_e32 v42, v19, v42
	v_fmac_f32_e32 v75, v18, v37
	v_fma_f32 v115, v21, v39, -v30
	v_fmac_f32_e32 v113, v22, v39
	v_fma_f32 v116, v19, v41, -v17
	v_mul_f32_e32 v19, v24, v44
	v_mul_f32_e32 v44, v23, v44
	ds_read_b64 v[17:18], v80
	v_fmac_f32_e32 v42, v20, v41
	s_waitcnt vmcnt(1) lgkmcnt(2)
	v_mul_f32_e32 v20, v26, v46
	v_mul_f32_e32 v41, v25, v46
	v_fma_f32 v46, v23, v43, -v19
	v_fmac_f32_e32 v44, v24, v43
	s_waitcnt lgkmcnt(1)
	v_mul_f32_e32 v19, v6, v48
	v_fma_f32 v43, v25, v45, -v20
	v_fmac_f32_e32 v41, v26, v45
	v_mul_f32_e32 v45, v5, v48
	s_waitcnt vmcnt(0)
	v_mul_f32_e32 v20, v28, v50
	v_fma_f32 v48, v5, v47, -v19
	v_mul_f32_e32 v5, v8, v52
	v_mul_f32_e32 v52, v7, v52
	v_fmac_f32_e32 v45, v6, v47
	v_fma_f32 v47, v27, v49, -v20
	ds_read_b64 v[19:20], v83
	ds_read_b64 v[21:22], v96
	;; [unrolled: 1-line block ×3, first 2 shown]
	v_add_f32_e32 v39, v53, v76
	v_mul_f32_e32 v50, v27, v50
	v_fmac_f32_e32 v52, v8, v51
	s_waitcnt lgkmcnt(3)
	v_add_f32_e32 v6, v17, v53
	v_add_f32_e32 v26, v18, v54
	v_lshl_add_u32 v8, v69, 3, 0
	v_fma_f32 v17, -0.5, v39, v17
	v_sub_f32_e32 v39, v54, v55
	v_add_f32_e32 v25, v6, v76
	v_add_f32_e32 v26, v26, v55
	v_fmac_f32_e32 v50, v28, v49
	v_fma_f32 v49, v7, v51, -v5
	v_lshl_add_u32 v7, v68, 3, 0
	v_lshl_add_u32 v6, v66, 3, 0
	;; [unrolled: 1-line block ×3, first 2 shown]
	v_fmac_f32_e32 v18, -0.5, v40
	v_sub_f32_e32 v40, v53, v76
	ds_read_b64 v[27:28], v8
	ds_read_b64 v[29:30], v7
	ds_read_b64 v[31:32], v6
	ds_read_b64 v[33:34], v5
	ds_read_b64 v[35:36], v95
	ds_read_b64 v[37:38], v94
	s_waitcnt lgkmcnt(0)
	s_barrier
	buffer_gl0_inv
	ds_write_b64 v80, v[25:26]
	v_fmamk_f32 v25, v39, 0x3f5db3d7, v17
	v_fmac_f32_e32 v17, 0xbf5db3d7, v39
	v_add_f32_e32 v39, v23, v108
	v_add_f32_e32 v51, v24, v98
	;; [unrolled: 1-line block ×4, first 2 shown]
	v_fmamk_f32 v26, v40, 0xbf5db3d7, v18
	v_fmac_f32_e32 v18, 0x3f5db3d7, v40
	v_add_f32_e32 v39, v39, v78
	v_add_f32_e32 v40, v51, v77
	v_fma_f32 v23, -0.5, v53, v23
	v_sub_f32_e32 v51, v98, v77
	v_fmac_f32_e32 v24, -0.5, v54
	v_sub_f32_e32 v53, v108, v78
	ds_write_b64 v80, v[25:26] offset:2400
	ds_write_b64 v80, v[17:18] offset:4800
	ds_write_b64 v97, v[39:40]
	v_add_f32_e32 v25, v21, v100
	v_add_f32_e32 v26, v22, v109
	v_fmamk_f32 v17, v51, 0x3f5db3d7, v23
	v_fmamk_f32 v18, v53, 0xbf5db3d7, v24
	v_add_f32_e32 v39, v100, v101
	v_add_f32_e32 v40, v109, v79
	v_fmac_f32_e32 v23, 0xbf5db3d7, v51
	v_fmac_f32_e32 v24, 0x3f5db3d7, v53
	v_add_f32_e32 v25, v25, v101
	v_add_f32_e32 v26, v26, v79
	v_fma_f32 v21, -0.5, v39, v21
	v_sub_f32_e32 v39, v109, v79
	v_fmac_f32_e32 v22, -0.5, v40
	v_sub_f32_e32 v40, v100, v101
	ds_write_b64 v97, v[17:18] offset:2400
	ds_write_b64 v97, v[23:24] offset:4800
	ds_write_b64 v96, v[25:26]
	v_cndmask_b32_e64 v25, 0, 0x1c20, s0
	v_add_f32_e32 v26, v102, v103
	v_add_f32_e32 v23, v19, v102
	;; [unrolled: 1-line block ×3, first 2 shown]
	v_fmamk_f32 v17, v39, 0x3f5db3d7, v21
	v_fmamk_f32 v18, v40, 0xbf5db3d7, v22
	v_add3_u32 v51, 0, v25, v12
	v_fma_f32 v19, -0.5, v26, v19
	v_sub_f32_e32 v12, v104, v105
	v_fmac_f32_e32 v21, 0xbf5db3d7, v39
	v_fmac_f32_e32 v22, 0x3f5db3d7, v40
	v_add_f32_e32 v23, v23, v103
	v_add_f32_e32 v24, v24, v105
	;; [unrolled: 1-line block ×3, first 2 shown]
	ds_write_b64 v96, v[17:18] offset:2400
	ds_write_b64 v96, v[21:22] offset:4800
	ds_write_b64 v51, v[23:24]
	v_fmamk_f32 v17, v12, 0x3f5db3d7, v19
	v_fmac_f32_e32 v19, 0xbf5db3d7, v12
	v_add_f32_e32 v12, v27, v107
	v_fmac_f32_e32 v20, -0.5, v39
	v_sub_f32_e32 v25, v102, v103
	v_add_f32_e32 v26, v111, v73
	v_add_f32_e32 v22, v28, v106
	;; [unrolled: 1-line block ×4, first 2 shown]
	v_fmamk_f32 v18, v25, 0xbf5db3d7, v20
	v_fmac_f32_e32 v20, 0x3f5db3d7, v25
	v_add_f32_e32 v25, v106, v110
	v_add_f32_e32 v23, v29, v112
	v_fma_f32 v27, -0.5, v12, v27
	v_add_f32_e32 v12, v112, v74
	v_add_f32_e32 v24, v30, v111
	v_sub_f32_e32 v53, v106, v110
	v_fmac_f32_e32 v28, -0.5, v25
	v_sub_f32_e32 v54, v107, v72
	v_fma_f32 v29, -0.5, v12, v29
	v_sub_f32_e32 v55, v111, v73
	v_fmac_f32_e32 v30, -0.5, v26
	v_sub_f32_e32 v72, v112, v74
	v_add_f32_e32 v22, v22, v110
	v_add_f32_e32 v23, v23, v74
	v_add_f32_e32 v24, v24, v73
	v_add_nc_u32_e32 v12, 0x1c00, v80
	v_fmamk_f32 v25, v53, 0x3f5db3d7, v27
	v_fmamk_f32 v26, v54, 0xbf5db3d7, v28
	;; [unrolled: 1-line block ×4, first 2 shown]
	v_fmac_f32_e32 v27, 0xbf5db3d7, v53
	v_fmac_f32_e32 v28, 0x3f5db3d7, v54
	;; [unrolled: 1-line block ×4, first 2 shown]
	ds_write_b64 v51, v[17:18] offset:2400
	ds_write_b64 v51, v[19:20] offset:4800
	ds_write2_b64 v12, v[21:22], v[23:24] offset0:64 offset1:154
	ds_write2_b64 v86, v[25:26], v[39:40] offset0:108 offset1:198
	;; [unrolled: 1-line block ×3, first 2 shown]
	v_add_f32_e32 v18, v114, v115
	v_add_f32_e32 v20, v75, v113
	;; [unrolled: 1-line block ×4, first 2 shown]
	v_sub_f32_e32 v21, v75, v113
	v_fma_f32 v35, -0.5, v18, v35
	v_fmac_f32_e32 v36, -0.5, v20
	v_sub_f32_e32 v22, v114, v115
	v_add_f32_e32 v18, v19, v113
	v_add_f32_e32 v14, v116, v46
	v_fmamk_f32 v19, v21, 0x3f5db3d7, v35
	v_fmac_f32_e32 v35, 0xbf5db3d7, v21
	v_add_f32_e32 v21, v42, v44
	v_fmamk_f32 v20, v22, 0xbf5db3d7, v36
	v_fmac_f32_e32 v36, 0x3f5db3d7, v22
	v_add_f32_e32 v22, v31, v116
	v_add_f32_e32 v23, v32, v42
	v_fma_f32 v31, -0.5, v14, v31
	v_sub_f32_e32 v14, v42, v44
	v_fmac_f32_e32 v32, -0.5, v21
	v_sub_f32_e32 v25, v116, v46
	v_add_f32_e32 v17, v17, v115
	v_add_f32_e32 v21, v22, v46
	v_add_f32_e32 v22, v23, v44
	v_lshl_add_u32 v26, v16, 3, 0
	v_fmamk_f32 v23, v14, 0x3f5db3d7, v31
	v_fmamk_f32 v24, v25, 0xbf5db3d7, v32
	ds_write_b64 v0, v[17:18]
	ds_write_b64 v0, v[19:20] offset:2400
	ds_write_b64 v0, v[35:36] offset:4800
	;; [unrolled: 1-line block ×4, first 2 shown]
	v_fmac_f32_e32 v31, 0xbf5db3d7, v14
	v_add_f32_e32 v0, v43, v48
	v_add_f32_e32 v14, v41, v45
	;; [unrolled: 1-line block ×4, first 2 shown]
	v_sub_f32_e32 v18, v43, v48
	v_fma_f32 v33, -0.5, v0, v33
	v_sub_f32_e32 v0, v41, v45
	v_fmac_f32_e32 v34, -0.5, v14
	v_fmac_f32_e32 v32, 0x3f5db3d7, v25
	v_lshl_add_u32 v19, v15, 3, 0
	v_add_f32_e32 v16, v16, v48
	v_fmamk_f32 v14, v0, 0x3f5db3d7, v33
	v_fmamk_f32 v15, v18, 0xbf5db3d7, v34
	v_add_f32_e32 v17, v17, v45
	v_fmac_f32_e32 v33, 0xbf5db3d7, v0
	v_fmac_f32_e32 v34, 0x3f5db3d7, v18
	v_add_f32_e32 v0, v47, v49
	ds_write_b64 v26, v[31:32] offset:19200
	ds_write_b64 v19, v[16:17] offset:14400
	;; [unrolled: 1-line block ×4, first 2 shown]
	v_add_f32_e32 v14, v50, v52
	v_add_f32_e32 v15, v37, v47
	v_fma_f32 v37, -0.5, v0, v37
	v_add_f32_e32 v0, v38, v50
	v_sub_f32_e32 v18, v50, v52
	v_fmac_f32_e32 v38, -0.5, v14
	v_sub_f32_e32 v19, v47, v49
	v_add_f32_e32 v14, v15, v49
	v_add_f32_e32 v15, v0, v52
	v_lshl_add_u32 v20, v13, 3, 0
	v_lshlrev_b32_e32 v0, 1, v70
	v_fmamk_f32 v16, v18, 0x3f5db3d7, v37
	v_fmamk_f32 v17, v19, 0xbf5db3d7, v38
	ds_write_b64 v20, v[14:15] offset:14400
	ds_write_b64 v20, v[16:17] offset:16800
	v_lshlrev_b64 v[13:14], 3, v[0:1]
	v_add_co_u32 v10, s0, 0x1800, v10
	v_add_co_ci_u32_e64 v11, s0, 0, v11, s0
	v_lshlrev_b32_e32 v0, 1, v69
	v_add_co_u32 v13, s0, s12, v13
	v_add_co_ci_u32_e64 v14, s0, s13, v14, s0
	v_fmac_f32_e32 v37, 0xbf5db3d7, v18
	v_add_co_u32 v17, s0, 0x1800, v13
	v_fmac_f32_e32 v38, 0x3f5db3d7, v19
	v_lshlrev_b64 v[21:22], 3, v[0:1]
	v_lshlrev_b32_e32 v0, 1, v68
	v_add_co_ci_u32_e64 v18, s0, 0, v14, s0
	ds_write_b64 v20, v[37:38] offset:19200
	s_waitcnt lgkmcnt(0)
	s_barrier
	buffer_gl0_inv
	s_clause 0x1
	global_load_dwordx4 v[13:16], v[10:11], off offset:1032
	global_load_dwordx4 v[17:20], v[17:18], off offset:1032
	v_lshlrev_b64 v[10:11], 3, v[0:1]
	v_add_co_u32 v0, s0, s12, v21
	v_add_co_ci_u32_e64 v21, s0, s13, v22, s0
	v_add_co_u32 v22, s0, s12, v10
	v_add_co_ci_u32_e64 v23, s0, s13, v11, s0
	v_add_co_u32 v10, s0, 0x1800, v0
	v_lshlrev_b32_e32 v0, 1, v67
	v_add_co_ci_u32_e64 v11, s0, 0, v21, s0
	v_add_co_u32 v25, s0, 0x1800, v22
	v_lshlrev_b64 v[29:30], 3, v[0:1]
	v_lshlrev_b32_e32 v0, 1, v66
	v_add_co_ci_u32_e64 v26, s0, 0, v23, s0
	s_clause 0x1
	global_load_dwordx4 v[21:24], v[10:11], off offset:1032
	global_load_dwordx4 v[25:28], v[25:26], off offset:1032
	v_lshlrev_b64 v[10:11], 3, v[0:1]
	v_add_co_u32 v0, s0, s12, v29
	v_add_co_ci_u32_e64 v29, s0, s13, v30, s0
	v_add_co_u32 v30, s0, s12, v10
	v_add_co_ci_u32_e64 v31, s0, s13, v11, s0
	;; [unrolled: 2-line block ×3, first 2 shown]
	v_add_co_u32 v33, s0, 0x1800, v30
	v_lshlrev_b32_e32 v0, 1, v65
	v_add_co_ci_u32_e64 v34, s0, 0, v31, s0
	s_clause 0x1
	global_load_dwordx4 v[29:32], v[10:11], off offset:1032
	global_load_dwordx4 v[33:36], v[33:34], off offset:1032
	v_lshlrev_b64 v[10:11], 3, v[0:1]
	v_lshlrev_b32_e32 v0, 1, v64
	v_add_co_u32 v37, s0, s12, v10
	v_add_co_ci_u32_e64 v38, s0, s13, v11, s0
	v_lshlrev_b64 v[10:11], 3, v[0:1]
	v_add_co_u32 v37, s0, 0x1800, v37
	v_add_co_ci_u32_e64 v38, s0, 0, v38, s0
	v_add_co_u32 v0, s0, s12, v10
	v_add_co_ci_u32_e64 v11, s0, s13, v11, s0
	global_load_dwordx4 v[37:40], v[37:38], off offset:1032
	v_add_co_u32 v10, s0, 0x1800, v0
	v_add_co_ci_u32_e64 v11, s0, 0, v11, s0
	v_add_co_u32 v2, s0, 0x1800, v2
	v_add_co_ci_u32_e64 v3, s0, 0, v3, s0
	global_load_dwordx4 v[41:44], v[10:11], off offset:1032
	v_add_co_u32 v10, s0, 0x1800, v4
	v_add_co_ci_u32_e64 v11, s0, 0, v9, s0
	s_clause 0x1
	global_load_dwordx4 v[45:48], v[2:3], off offset:1032
	global_load_dwordx4 v[49:52], v[10:11], off offset:1032
	ds_read2_b64 v[72:75], v84 offset0:56 offset1:146
	ds_read2_b64 v[76:79], v85 offset0:60 offset1:150
	;; [unrolled: 1-line block ×4, first 2 shown]
	s_waitcnt vmcnt(9) lgkmcnt(3)
	v_mul_f32_e32 v0, v73, v14
	v_mul_f32_e32 v4, v72, v14
	s_waitcnt lgkmcnt(2)
	v_mul_f32_e32 v2, v77, v16
	v_mul_f32_e32 v53, v76, v16
	s_waitcnt vmcnt(8)
	v_mul_f32_e32 v55, v74, v18
	v_fma_f32 v0, v72, v13, -v0
	v_fmac_f32_e32 v4, v73, v13
	v_fma_f32 v54, v76, v15, -v2
	v_fmac_f32_e32 v53, v77, v15
	v_mul_f32_e32 v2, v75, v18
	v_mul_f32_e32 v3, v79, v20
	;; [unrolled: 1-line block ×3, first 2 shown]
	ds_read2_b64 v[13:16], v89 offset0:160 offset1:250
	v_fmac_f32_e32 v55, v75, v17
	v_fma_f32 v77, v74, v17, -v2
	v_fma_f32 v78, v78, v19, -v3
	v_fmac_f32_e32 v76, v79, v19
	ds_read2_b64 v[17:20], v88 offset0:36 offset1:126
	ds_read2_b64 v[72:75], v90 offset0:88 offset1:178
	s_waitcnt vmcnt(7) lgkmcnt(4)
	v_mul_f32_e32 v2, v99, v22
	v_mul_f32_e32 v79, v98, v22
	s_waitcnt lgkmcnt(3)
	v_mul_f32_e32 v3, v85, v24
	v_mul_f32_e32 v88, v84, v24
	s_waitcnt vmcnt(6)
	v_mul_f32_e32 v9, v101, v26
	v_fma_f32 v89, v98, v21, -v2
	v_fmac_f32_e32 v79, v99, v21
	v_fma_f32 v84, v84, v23, -v3
	v_fmac_f32_e32 v88, v85, v23
	ds_read2_b64 v[21:24], v92 offset0:84 offset1:174
	v_mul_f32_e32 v2, v87, v28
	v_mul_f32_e32 v99, v86, v28
	v_fma_f32 v85, v100, v25, -v9
	v_mul_f32_e32 v98, v100, v26
	v_fma_f32 v86, v86, v27, -v2
	v_fmac_f32_e32 v99, v87, v27
	v_fmac_f32_e32 v98, v101, v25
	s_waitcnt vmcnt(5) lgkmcnt(3)
	v_mul_f32_e32 v3, v14, v30
	v_mul_f32_e32 v90, v13, v30
	s_waitcnt lgkmcnt(2)
	v_mul_f32_e32 v2, v18, v32
	v_mul_f32_e32 v32, v17, v32
	s_waitcnt vmcnt(4)
	v_mul_f32_e32 v9, v20, v36
	v_fma_f32 v87, v13, v29, -v3
	v_mul_f32_e32 v3, v16, v34
	v_mul_f32_e32 v34, v15, v34
	v_fmac_f32_e32 v90, v14, v29
	v_fma_f32 v92, v17, v31, -v2
	v_fmac_f32_e32 v32, v18, v31
	v_fma_f32 v31, v15, v33, -v3
	v_fmac_f32_e32 v34, v16, v33
	ds_read_b64 v[2:3], v80 offset:7200
	ds_read2_b64 v[13:16], v61 offset0:8 offset1:98
	v_fma_f32 v33, v19, v35, -v9
	v_mul_f32_e32 v36, v19, v36
	v_fmac_f32_e32 v36, v20, v35
	s_waitcnt vmcnt(3) lgkmcnt(2)
	v_mul_f32_e32 v9, v22, v38
	v_mul_f32_e32 v38, v21, v38
	;; [unrolled: 1-line block ×4, first 2 shown]
	v_fma_f32 v35, v21, v37, -v9
	v_fmac_f32_e32 v38, v22, v37
	v_fma_f32 v37, v72, v39, -v10
	ds_read2_b32 v[9:10], v12 offset0:188 offset1:189
	ds_read_b64 v[11:12], v83
	ds_read_b64 v[17:18], v97
	;; [unrolled: 1-line block ×3, first 2 shown]
	s_waitcnt vmcnt(2)
	v_mul_f32_e32 v21, v24, v42
	v_mul_f32_e32 v42, v23, v42
	;; [unrolled: 1-line block ×4, first 2 shown]
	v_fmac_f32_e32 v40, v73, v39
	v_fma_f32 v39, v23, v41, -v21
	s_waitcnt vmcnt(1) lgkmcnt(5)
	v_mul_f32_e32 v21, v46, v3
	v_mul_f32_e32 v29, v46, v2
	v_fmac_f32_e32 v42, v24, v41
	v_fma_f32 v41, v74, v43, -v22
	s_waitcnt lgkmcnt(4)
	v_mul_f32_e32 v22, v48, v14
	v_fmac_f32_e32 v44, v75, v43
	v_mul_f32_e32 v30, v48, v13
	v_fma_f32 v43, v45, v2, -v21
	v_fmac_f32_e32 v29, v45, v3
	v_fma_f32 v45, v47, v13, -v22
	s_waitcnt vmcnt(0) lgkmcnt(3)
	v_mul_f32_e32 v2, v10, v50
	v_mul_f32_e32 v48, v50, v9
	;; [unrolled: 1-line block ×3, first 2 shown]
	v_fmac_f32_e32 v30, v47, v14
	v_mul_f32_e32 v47, v15, v52
	s_waitcnt lgkmcnt(0)
	v_add_f32_e32 v3, v19, v43
	v_add_f32_e32 v13, v20, v29
	v_fma_f32 v50, v49, v9, -v2
	v_fmac_f32_e32 v48, v10, v49
	v_add_f32_e32 v49, v43, v45
	v_fma_f32 v46, v15, v51, -v23
	v_fmac_f32_e32 v47, v16, v51
	v_add_f32_e32 v2, v3, v45
	v_add_f32_e32 v3, v13, v30
	ds_read_b64 v[9:10], v96
	ds_read_b64 v[13:14], v8
	;; [unrolled: 1-line block ×4, first 2 shown]
	v_add_f32_e32 v51, v29, v30
	v_fma_f32 v19, -0.5, v49, v19
	v_sub_f32_e32 v29, v29, v30
	v_sub_f32_e32 v30, v43, v45
	ds_read_b64 v[23:24], v94
	ds_read_b64 v[25:26], v95
	;; [unrolled: 1-line block ×3, first 2 shown]
	v_fmac_f32_e32 v20, -0.5, v51
	s_waitcnt lgkmcnt(0)
	s_barrier
	buffer_gl0_inv
	ds_write_b64 v80, v[2:3]
	v_fmamk_f32 v2, v29, 0x3f5db3d7, v19
	v_fmac_f32_e32 v19, 0xbf5db3d7, v29
	v_add_f32_e32 v29, v17, v50
	v_add_f32_e32 v43, v18, v48
	v_fmamk_f32 v3, v30, 0xbf5db3d7, v20
	v_add_f32_e32 v45, v50, v46
	v_add_f32_e32 v49, v48, v47
	v_fmac_f32_e32 v20, 0x3f5db3d7, v30
	v_add_f32_e32 v29, v29, v46
	v_add_f32_e32 v30, v43, v47
	v_fma_f32 v17, -0.5, v45, v17
	v_sub_f32_e32 v43, v48, v47
	v_fmac_f32_e32 v18, -0.5, v49
	v_sub_f32_e32 v45, v50, v46
	ds_write_b64 v80, v[2:3] offset:7200
	ds_write_b64 v80, v[19:20] offset:14400
	ds_write_b64 v97, v[29:30]
	v_add_f32_e32 v29, v0, v54
	v_add_f32_e32 v30, v4, v53
	;; [unrolled: 1-line block ×4, first 2 shown]
	v_fmamk_f32 v2, v43, 0x3f5db3d7, v17
	v_fmamk_f32 v3, v45, 0xbf5db3d7, v18
	v_fma_f32 v9, -0.5, v29, v9
	v_sub_f32_e32 v4, v4, v53
	v_fmac_f32_e32 v10, -0.5, v30
	v_sub_f32_e32 v0, v0, v54
	v_fmac_f32_e32 v17, 0xbf5db3d7, v43
	v_fmac_f32_e32 v18, 0x3f5db3d7, v45
	v_add_f32_e32 v19, v19, v54
	v_add_f32_e32 v20, v20, v53
	ds_write_b64 v97, v[2:3] offset:7200
	ds_write_b64 v97, v[17:18] offset:14400
	ds_write_b64 v96, v[19:20]
	v_fmamk_f32 v2, v4, 0x3f5db3d7, v9
	v_fmamk_f32 v3, v0, 0xbf5db3d7, v10
	v_fmac_f32_e32 v9, 0xbf5db3d7, v4
	v_add_f32_e32 v4, v11, v77
	v_add_f32_e32 v19, v77, v78
	v_fmac_f32_e32 v10, 0x3f5db3d7, v0
	v_add_f32_e32 v0, v55, v76
	v_add_f32_e32 v18, v12, v55
	v_add_f32_e32 v17, v4, v78
	v_fma_f32 v11, -0.5, v19, v11
	v_sub_f32_e32 v4, v55, v76
	v_fmac_f32_e32 v12, -0.5, v0
	v_sub_f32_e32 v0, v77, v78
	v_add_f32_e32 v18, v18, v76
	ds_write_b64 v96, v[2:3] offset:7200
	ds_write_b64 v96, v[9:10] offset:14400
	ds_write_b64 v83, v[17:18]
	v_fmamk_f32 v2, v4, 0x3f5db3d7, v11
	v_fmamk_f32 v3, v0, 0xbf5db3d7, v12
	v_fmac_f32_e32 v11, 0xbf5db3d7, v4
	v_add_f32_e32 v4, v13, v89
	v_add_f32_e32 v17, v89, v84
	v_fmac_f32_e32 v12, 0x3f5db3d7, v0
	v_add_f32_e32 v0, v79, v88
	v_add_f32_e32 v10, v14, v79
	v_add_f32_e32 v9, v4, v84
	v_fma_f32 v13, -0.5, v17, v13
	v_sub_f32_e32 v4, v79, v88
	v_fmac_f32_e32 v14, -0.5, v0
	v_sub_f32_e32 v0, v89, v84
	;; [unrolled: 17-line block ×3, first 2 shown]
	v_add_f32_e32 v11, v87, v92
	v_add_f32_e32 v10, v10, v99
	ds_write_b64 v8, v[2:3] offset:7200
	ds_write_b64 v8, v[13:14] offset:14400
	ds_write_b64 v7, v[9:10]
	v_fmamk_f32 v2, v4, 0x3f5db3d7, v15
	v_fmamk_f32 v3, v0, 0xbf5db3d7, v16
	v_add_f32_e32 v9, v25, v87
	v_fmac_f32_e32 v16, 0x3f5db3d7, v0
	v_fma_f32 v25, -0.5, v11, v25
	v_sub_f32_e32 v0, v90, v32
	v_add_f32_e32 v10, v26, v90
	v_fmac_f32_e32 v15, 0xbf5db3d7, v4
	ds_write_b64 v7, v[2:3] offset:7200
	v_add_f32_e32 v3, v90, v32
	v_fmamk_f32 v2, v0, 0x3f5db3d7, v25
	v_fmac_f32_e32 v25, 0xbf5db3d7, v0
	v_add_f32_e32 v0, v31, v33
	v_add_f32_e32 v4, v22, v34
	;; [unrolled: 1-line block ×5, first 2 shown]
	ds_write_b64 v7, v[15:16] offset:14400
	ds_write_b64 v95, v[9:10]
	v_fmac_f32_e32 v26, -0.5, v3
	v_add_f32_e32 v3, v21, v31
	v_sub_f32_e32 v11, v87, v92
	v_fma_f32 v21, -0.5, v0, v21
	v_add_f32_e32 v10, v4, v36
	v_sub_f32_e32 v0, v34, v36
	v_fmac_f32_e32 v22, -0.5, v12
	v_sub_f32_e32 v4, v31, v33
	v_add_f32_e32 v9, v3, v33
	v_fmamk_f32 v3, v11, 0xbf5db3d7, v26
	v_fmac_f32_e32 v26, 0x3f5db3d7, v11
	v_fmamk_f32 v11, v0, 0x3f5db3d7, v21
	v_add_f32_e32 v13, v35, v37
	v_fmac_f32_e32 v21, 0xbf5db3d7, v0
	v_fmamk_f32 v12, v4, 0xbf5db3d7, v22
	v_add_f32_e32 v0, v27, v35
	v_fmac_f32_e32 v22, 0x3f5db3d7, v4
	v_add_f32_e32 v4, v38, v40
	v_add_f32_e32 v14, v28, v38
	v_fma_f32 v27, -0.5, v13, v27
	v_sub_f32_e32 v16, v38, v40
	v_add_f32_e32 v13, v0, v37
	v_fmac_f32_e32 v28, -0.5, v4
	v_add_f32_e32 v0, v39, v41
	v_add_f32_e32 v4, v23, v39
	;; [unrolled: 1-line block ×3, first 2 shown]
	v_fmamk_f32 v15, v16, 0x3f5db3d7, v27
	v_fmac_f32_e32 v27, 0xbf5db3d7, v16
	v_add_f32_e32 v16, v24, v42
	v_sub_f32_e32 v19, v35, v37
	v_fma_f32 v23, -0.5, v0, v23
	v_add_f32_e32 v17, v4, v41
	v_sub_f32_e32 v0, v42, v44
	v_fmac_f32_e32 v24, -0.5, v20
	v_sub_f32_e32 v4, v39, v41
	v_add_f32_e32 v14, v14, v40
	v_add_f32_e32 v18, v16, v44
	v_fmamk_f32 v16, v19, 0xbf5db3d7, v28
	v_fmac_f32_e32 v28, 0x3f5db3d7, v19
	v_fmamk_f32 v19, v0, 0x3f5db3d7, v23
	v_fmac_f32_e32 v23, 0xbf5db3d7, v0
	;; [unrolled: 2-line block ×3, first 2 shown]
	ds_write_b64 v95, v[2:3] offset:7200
	ds_write_b64 v95, v[25:26] offset:14400
	ds_write_b64 v6, v[9:10]
	ds_write_b64 v6, v[11:12] offset:7200
	ds_write_b64 v6, v[21:22] offset:14400
	ds_write_b64 v5, v[13:14]
	;; [unrolled: 3-line block ×3, first 2 shown]
	ds_write_b64 v94, v[19:20] offset:7200
	ds_write_b64 v94, v[23:24] offset:14400
	s_waitcnt lgkmcnt(0)
	s_barrier
	buffer_gl0_inv
	ds_read_b64 v[3:4], v80
	v_sub_nc_u32_e32 v0, 0, v57
                                        ; implicit-def: $vgpr2
                                        ; implicit-def: $vgpr11
	v_cmpx_ne_u32_e32 0, v56
	s_xor_b32 s5, exec_lo, s5
	s_cbranch_execz .LBB0_15
; %bb.14:
	v_mov_b32_e32 v57, v1
	v_lshlrev_b64 v[1:2], 3, v[56:57]
	v_add_co_u32 v1, s0, s1, v1
	v_add_co_ci_u32_e64 v2, s0, s4, v2, s0
	global_load_dwordx2 v[9:10], v[1:2], off
	ds_read_b64 v[1:2], v0 offset:21600
	s_waitcnt lgkmcnt(0)
	v_sub_f32_e32 v11, v3, v1
	v_add_f32_e32 v12, v2, v4
	v_sub_f32_e32 v2, v4, v2
	v_add_f32_e32 v1, v1, v3
	v_mul_f32_e32 v4, 0.5, v11
	v_mul_f32_e32 v3, 0.5, v12
	;; [unrolled: 1-line block ×3, first 2 shown]
	s_waitcnt vmcnt(0)
	v_mul_f32_e32 v11, v10, v4
	v_fma_f32 v12, v3, v10, v2
	v_fma_f32 v2, v3, v10, -v2
	v_fma_f32 v13, 0.5, v1, v11
	v_fma_f32 v1, v1, 0.5, -v11
	v_fma_f32 v11, -v9, v4, v12
	v_fma_f32 v2, -v9, v4, v2
	v_fmac_f32_e32 v13, v9, v3
	v_fma_f32 v1, -v9, v3, v1
                                        ; implicit-def: $vgpr3_vgpr4
	ds_write_b32 v80, v13
.LBB0_15:
	s_or_saveexec_b32 s0, s5
	v_sub_nc_u32_e32 v10, 0, v91
	v_sub_nc_u32_e32 v9, 0, v93
	s_xor_b32 exec_lo, exec_lo, s0
	s_cbranch_execz .LBB0_17
; %bb.16:
	v_mov_b32_e32 v11, 0
	s_waitcnt lgkmcnt(0)
	v_add_f32_e32 v12, v3, v4
	v_sub_f32_e32 v1, v3, v4
	ds_read_b32 v2, v11 offset:10804
	s_waitcnt lgkmcnt(0)
	v_xor_b32_e32 v3, 0x80000000, v2
	v_mov_b32_e32 v2, v11
	ds_write_b32 v80, v12
	ds_write_b32 v11, v3 offset:10804
.LBB0_17:
	s_or_b32 exec_lo, exec_lo, s0
	v_mov_b32_e32 v61, 0
	v_add_nc_u32_e32 v10, v81, v10
	s_waitcnt lgkmcnt(0)
	v_lshlrev_b64 v[3:4], 3, v[60:61]
	v_mov_b32_e32 v72, v61
	v_add_nc_u32_e32 v60, 0x384, v56
	v_lshlrev_b64 v[12:13], 3, v[71:72]
	v_add_co_u32 v3, s0, s1, v3
	v_add_co_ci_u32_e64 v4, s0, s4, v4, s0
	v_mov_b32_e32 v71, v61
	v_add_co_u32 v12, s0, s1, v12
	global_load_dwordx2 v[3:4], v[3:4], off
	v_add_co_ci_u32_e64 v13, s0, s4, v13, s0
	v_lshlrev_b64 v[14:15], 3, v[70:71]
	v_mov_b32_e32 v70, v61
	global_load_dwordx2 v[12:13], v[12:13], off
	v_add_co_u32 v14, s0, s1, v14
	v_add_co_ci_u32_e64 v15, s0, s4, v15, s0
	v_lshlrev_b64 v[16:17], 3, v[69:70]
	v_mov_b32_e32 v69, v61
	global_load_dwordx2 v[14:15], v[14:15], off
	v_add_co_u32 v16, s0, s1, v16
	;; [unrolled: 5-line block ×4, first 2 shown]
	v_add_co_ci_u32_e64 v21, s0, s4, v21, s0
	v_lshlrev_b64 v[22:23], 3, v[66:67]
	v_mov_b32_e32 v66, v61
	global_load_dwordx2 v[20:21], v[20:21], off
	ds_write_b32 v80, v11 offset:4
	ds_write_b64 v0, v[1:2] offset:21600
	ds_read_b64 v[1:2], v97
	ds_read_b64 v[24:25], v0 offset:20880
	v_add_co_u32 v22, s0, s1, v22
	v_add_co_ci_u32_e64 v23, s0, s4, v23, s0
	global_load_dwordx2 v[22:23], v[22:23], off
	s_waitcnt lgkmcnt(0)
	v_sub_f32_e32 v11, v1, v24
	v_add_f32_e32 v26, v2, v25
	v_sub_f32_e32 v2, v2, v25
	v_add_f32_e32 v24, v1, v24
	v_mul_f32_e32 v11, 0.5, v11
	v_mul_f32_e32 v25, 0.5, v26
	;; [unrolled: 1-line block ×3, first 2 shown]
	s_waitcnt vmcnt(6)
	v_mul_f32_e32 v26, v4, v11
	v_fma_f32 v27, v25, v4, v2
	v_fma_f32 v4, v25, v4, -v2
	v_fma_f32 v1, 0.5, v24, v26
	v_fma_f32 v24, v24, 0.5, -v26
	v_fma_f32 v2, -v3, v11, v27
	v_fma_f32 v4, -v3, v11, v4
	v_fmac_f32_e32 v1, v3, v25
	v_fma_f32 v3, -v3, v25, v24
	v_lshlrev_b64 v[24:25], 3, v[65:66]
	v_mov_b32_e32 v65, v61
	ds_write_b64 v97, v[1:2]
	ds_write_b64 v0, v[3:4] offset:20880
	ds_read_b64 v[1:2], v96
	ds_read_b64 v[3:4], v0 offset:20160
	v_add_co_u32 v24, s0, s1, v24
	v_add_co_ci_u32_e64 v25, s0, s4, v25, s0
	global_load_dwordx2 v[24:25], v[24:25], off
	s_waitcnt lgkmcnt(0)
	v_sub_f32_e32 v11, v1, v3
	v_add_f32_e32 v26, v2, v4
	v_sub_f32_e32 v2, v2, v4
	v_add_f32_e32 v3, v1, v3
	v_mul_f32_e32 v11, 0.5, v11
	v_mul_f32_e32 v26, 0.5, v26
	;; [unrolled: 1-line block ×3, first 2 shown]
	s_waitcnt vmcnt(6)
	v_mul_f32_e32 v4, v13, v11
	v_fma_f32 v27, v26, v13, v2
	v_fma_f32 v13, v26, v13, -v2
	v_fma_f32 v1, 0.5, v3, v4
	v_fma_f32 v28, v3, 0.5, -v4
	v_lshlrev_b64 v[3:4], 3, v[64:65]
	v_fma_f32 v2, -v12, v11, v27
	v_fma_f32 v13, -v12, v11, v13
	v_fmac_f32_e32 v1, v12, v26
	v_fma_f32 v12, -v12, v26, v28
	ds_write_b64 v96, v[1:2]
	ds_write_b64 v0, v[12:13] offset:20160
	v_add_co_u32 v3, s0, s1, v3
	v_add_co_ci_u32_e64 v4, s0, s4, v4, s0
	ds_read_b64 v[1:2], v83
	ds_read_b64 v[11:12], v0 offset:19440
	global_load_dwordx2 v[3:4], v[3:4], off
	s_waitcnt lgkmcnt(0)
	v_sub_f32_e32 v13, v1, v11
	v_add_f32_e32 v26, v2, v12
	v_sub_f32_e32 v2, v2, v12
	v_add_f32_e32 v11, v1, v11
	v_mul_f32_e32 v13, 0.5, v13
	v_mul_f32_e32 v26, 0.5, v26
	v_mul_f32_e32 v2, 0.5, v2
	s_waitcnt vmcnt(6)
	v_mul_f32_e32 v12, v15, v13
	v_fma_f32 v27, v26, v15, v2
	v_fma_f32 v15, v26, v15, -v2
	v_fma_f32 v1, 0.5, v11, v12
	v_fma_f32 v28, v11, 0.5, -v12
	v_lshlrev_b64 v[11:12], 3, v[60:61]
	v_fma_f32 v2, -v14, v13, v27
	v_fma_f32 v15, -v14, v13, v15
	v_fmac_f32_e32 v1, v14, v26
	v_fma_f32 v14, -v14, v26, v28
	ds_write_b64 v83, v[1:2]
	ds_write_b64 v0, v[14:15] offset:19440
	v_add_co_u32 v11, s0, s1, v11
	v_add_co_ci_u32_e64 v12, s0, s4, v12, s0
	ds_read_b64 v[1:2], v8
	ds_read_b64 v[13:14], v0 offset:18720
	v_add_nc_u32_e32 v60, 0x3de, v56
	global_load_dwordx2 v[11:12], v[11:12], off
	s_waitcnt lgkmcnt(0)
	v_sub_f32_e32 v15, v1, v13
	v_add_f32_e32 v26, v2, v14
	v_sub_f32_e32 v2, v2, v14
	v_add_f32_e32 v13, v1, v13
	v_mul_f32_e32 v15, 0.5, v15
	v_mul_f32_e32 v26, 0.5, v26
	v_mul_f32_e32 v2, 0.5, v2
	s_waitcnt vmcnt(6)
	v_mul_f32_e32 v14, v17, v15
	v_fma_f32 v27, v26, v17, v2
	v_fma_f32 v17, v26, v17, -v2
	v_fma_f32 v1, 0.5, v13, v14
	v_fma_f32 v28, v13, 0.5, -v14
	v_lshlrev_b64 v[13:14], 3, v[60:61]
	v_fma_f32 v2, -v16, v15, v27
	v_fma_f32 v17, -v16, v15, v17
	v_fmac_f32_e32 v1, v16, v26
	v_fma_f32 v16, -v16, v26, v28
	ds_write_b64 v8, v[1:2]
	ds_write_b64 v0, v[16:17] offset:18720
	v_add_co_u32 v13, s0, s1, v13
	v_add_co_ci_u32_e64 v14, s0, s4, v14, s0
	ds_read_b64 v[1:2], v7
	ds_read_b64 v[15:16], v0 offset:18000
	v_add_nc_u32_e32 v60, 0x438, v56
	;; [unrolled: 27-line block ×4, first 2 shown]
	global_load_dwordx2 v[7:8], v[7:8], off
	s_waitcnt lgkmcnt(0)
	v_add_f32_e32 v19, v2, v18
	v_sub_f32_e32 v2, v2, v18
	v_sub_f32_e32 v10, v1, v17
	v_add_f32_e32 v20, v1, v17
	v_mul_f32_e32 v19, 0.5, v19
	v_mul_f32_e32 v18, 0.5, v2
	v_lshlrev_b64 v[1:2], 3, v[60:61]
	v_mul_f32_e32 v10, 0.5, v10
	s_waitcnt vmcnt(6)
	v_fma_f32 v26, v19, v23, v18
	v_add_co_u32 v1, s0, s1, v1
	v_add_co_ci_u32_e64 v2, s0, s4, v2, s0
	v_mul_f32_e32 v21, v23, v10
	v_fma_f32 v23, v19, v23, -v18
	v_fma_f32 v18, -v22, v10, v26
	global_load_dwordx2 v[1:2], v[1:2], off
	v_fma_f32 v17, 0.5, v20, v21
	v_fma_f32 v21, v20, 0.5, -v21
	v_fma_f32 v20, -v22, v10, v23
	v_fmac_f32_e32 v17, v22, v19
	v_fma_f32 v19, -v22, v19, v21
	ds_write_b64 v6, v[17:18]
	ds_write_b64 v0, v[19:20] offset:16560
	ds_read_b64 v[17:18], v5
	ds_read_b64 v[19:20], v0 offset:15840
	s_waitcnt lgkmcnt(0)
	v_sub_f32_e32 v6, v17, v19
	v_add_f32_e32 v10, v18, v20
	v_sub_f32_e32 v18, v18, v20
	v_add_f32_e32 v19, v17, v19
	v_mul_f32_e32 v6, 0.5, v6
	v_mul_f32_e32 v10, 0.5, v10
	;; [unrolled: 1-line block ×3, first 2 shown]
	s_waitcnt vmcnt(6)
	v_mul_f32_e32 v20, v25, v6
	v_fma_f32 v21, v10, v25, v18
	v_fma_f32 v22, v10, v25, -v18
	v_fma_f32 v17, 0.5, v19, v20
	v_fma_f32 v19, v19, 0.5, -v20
	v_fma_f32 v18, -v24, v6, v21
	v_fma_f32 v20, -v24, v6, v22
	v_add_nc_u32_e32 v21, v82, v9
	v_fmac_f32_e32 v17, v24, v10
	v_fma_f32 v19, -v24, v10, v19
	ds_write_b64 v5, v[17:18]
	ds_write_b64 v0, v[19:20] offset:15840
	ds_read_b64 v[5:6], v21
	ds_read_b64 v[9:10], v0 offset:15120
	s_waitcnt lgkmcnt(0)
	v_sub_f32_e32 v17, v5, v9
	v_add_f32_e32 v18, v6, v10
	v_sub_f32_e32 v6, v6, v10
	v_add_f32_e32 v5, v5, v9
	v_mul_f32_e32 v10, 0.5, v17
	v_mul_f32_e32 v17, 0.5, v18
	v_mul_f32_e32 v6, 0.5, v6
	s_waitcnt vmcnt(5)
	v_mul_f32_e32 v9, v4, v10
	v_fma_f32 v18, v17, v4, v6
	v_fma_f32 v6, v17, v4, -v6
	v_fma_f32 v4, 0.5, v5, v9
	v_fma_f32 v9, v5, 0.5, -v9
	v_fma_f32 v5, -v3, v10, v18
	v_fma_f32 v10, -v3, v10, v6
	v_fmac_f32_e32 v4, v3, v17
	v_fma_f32 v9, -v3, v17, v9
	ds_write_b64 v21, v[4:5]
	ds_write_b64 v0, v[9:10] offset:15120
	ds_read_b64 v[3:4], v80 offset:7200
	ds_read_b64 v[5:6], v0 offset:14400
	s_waitcnt lgkmcnt(0)
	v_sub_f32_e32 v9, v3, v5
	v_add_f32_e32 v10, v4, v6
	v_sub_f32_e32 v4, v4, v6
	v_add_f32_e32 v5, v3, v5
	v_mul_f32_e32 v6, 0.5, v9
	v_mul_f32_e32 v9, 0.5, v10
	v_mul_f32_e32 v4, 0.5, v4
	s_waitcnt vmcnt(4)
	v_mul_f32_e32 v10, v12, v6
	v_fma_f32 v17, v9, v12, v4
	v_fma_f32 v12, v9, v12, -v4
	v_fma_f32 v3, 0.5, v5, v10
	v_fma_f32 v5, v5, 0.5, -v10
	v_fma_f32 v4, -v11, v6, v17
	v_fma_f32 v6, -v11, v6, v12
	v_fmac_f32_e32 v3, v11, v9
	v_fma_f32 v5, -v11, v9, v5
	ds_write_b64 v80, v[3:4] offset:7200
	ds_write_b64 v0, v[5:6] offset:14400
	ds_read_b64 v[3:4], v80 offset:7920
	ds_read_b64 v[5:6], v0 offset:13680
	s_waitcnt lgkmcnt(0)
	v_sub_f32_e32 v9, v3, v5
	v_add_f32_e32 v10, v4, v6
	v_sub_f32_e32 v4, v4, v6
	v_add_f32_e32 v5, v3, v5
	v_mul_f32_e32 v6, 0.5, v9
	v_mul_f32_e32 v9, 0.5, v10
	v_mul_f32_e32 v4, 0.5, v4
	s_waitcnt vmcnt(3)
	v_mul_f32_e32 v10, v14, v6
	v_fma_f32 v11, v9, v14, v4
	v_fma_f32 v12, v9, v14, -v4
	v_fma_f32 v3, 0.5, v5, v10
	v_fma_f32 v5, v5, 0.5, -v10
	v_fma_f32 v4, -v13, v6, v11
	v_fma_f32 v6, -v13, v6, v12
	v_fmac_f32_e32 v3, v13, v9
	v_fma_f32 v5, -v13, v9, v5
	ds_write_b64 v80, v[3:4] offset:7920
	;; [unrolled: 22-line block ×5, first 2 shown]
	ds_write_b64 v0, v[4:5] offset:11520
	s_waitcnt lgkmcnt(0)
	s_barrier
	buffer_gl0_inv
	s_and_saveexec_b32 s0, vcc_lo
	s_cbranch_execz .LBB0_20
; %bb.18:
	v_mul_lo_u32 v2, s3, v62
	v_mul_lo_u32 v3, s2, v63
	v_mad_u64_u32 v[0:1], null, s2, v62, 0
	v_lshl_add_u32 v24, v56, 3, 0
	v_mov_b32_e32 v57, v61
	v_lshlrev_b64 v[6:7], 3, v[58:59]
	v_add_nc_u32_e32 v60, 0x5a, v56
	v_add_nc_u32_e32 v12, 0x400, v24
	v_add3_u32 v1, v1, v3, v2
	ds_read2_b64 v[2:5], v24 offset1:90
	v_lshlrev_b64 v[8:9], 3, v[56:57]
	v_lshlrev_b64 v[10:11], 3, v[60:61]
	v_add_nc_u32_e32 v60, 0xb4, v56
	v_lshlrev_b64 v[0:1], 3, v[0:1]
	v_add_nc_u32_e32 v14, 0x800, v24
	v_add_nc_u32_e32 v18, 0x1000, v24
	v_add_co_u32 v0, vcc_lo, s10, v0
	v_add_co_ci_u32_e32 v1, vcc_lo, s11, v1, vcc_lo
	v_add_co_u32 v0, vcc_lo, v0, v6
	v_add_co_ci_u32_e32 v1, vcc_lo, v1, v7, vcc_lo
	;; [unrolled: 2-line block ×4, first 2 shown]
	v_lshlrev_b64 v[10:11], 3, v[60:61]
	v_add_nc_u32_e32 v60, 0x10e, v56
	s_waitcnt lgkmcnt(0)
	global_store_dwordx2 v[6:7], v[2:3], off
	global_store_dwordx2 v[8:9], v[4:5], off
	ds_read2_b64 v[2:5], v12 offset0:52 offset1:142
	ds_read2_b64 v[6:9], v14 offset0:104 offset1:194
	v_lshlrev_b64 v[12:13], 3, v[60:61]
	v_add_nc_u32_e32 v60, 0x168, v56
	v_add_co_u32 v10, vcc_lo, v0, v10
	v_add_co_ci_u32_e32 v11, vcc_lo, v1, v11, vcc_lo
	v_lshlrev_b64 v[14:15], 3, v[60:61]
	v_add_co_u32 v12, vcc_lo, v0, v12
	v_add_co_ci_u32_e32 v13, vcc_lo, v1, v13, vcc_lo
	v_add_nc_u32_e32 v60, 0x1c2, v56
	v_add_co_u32 v14, vcc_lo, v0, v14
	v_add_co_ci_u32_e32 v15, vcc_lo, v1, v15, vcc_lo
	v_lshlrev_b64 v[16:17], 3, v[60:61]
	v_add_nc_u32_e32 v60, 0x21c, v56
	s_waitcnt lgkmcnt(1)
	global_store_dwordx2 v[10:11], v[2:3], off
	global_store_dwordx2 v[12:13], v[4:5], off
	s_waitcnt lgkmcnt(0)
	global_store_dwordx2 v[14:15], v[6:7], off
	ds_read2_b64 v[2:5], v18 offset0:28 offset1:118
	v_lshlrev_b64 v[6:7], 3, v[60:61]
	v_add_nc_u32_e32 v60, 0x276, v56
	v_add_co_u32 v10, vcc_lo, v0, v16
	v_add_co_ci_u32_e32 v11, vcc_lo, v1, v17, vcc_lo
	v_lshlrev_b64 v[12:13], 3, v[60:61]
	v_add_nc_u32_e32 v60, 0x2d0, v56
	v_add_co_u32 v6, vcc_lo, v0, v6
	v_add_co_ci_u32_e32 v7, vcc_lo, v1, v7, vcc_lo
	v_add_co_u32 v12, vcc_lo, v0, v12
	v_lshlrev_b64 v[14:15], 3, v[60:61]
	v_add_nc_u32_e32 v60, 0x32a, v56
	v_add_co_ci_u32_e32 v13, vcc_lo, v1, v13, vcc_lo
	v_add_nc_u32_e32 v16, 0x1400, v24
	global_store_dwordx2 v[10:11], v[8:9], off
	s_waitcnt lgkmcnt(0)
	global_store_dwordx2 v[6:7], v[2:3], off
	global_store_dwordx2 v[12:13], v[4:5], off
	v_lshlrev_b64 v[10:11], 3, v[60:61]
	v_add_nc_u32_e32 v60, 0x384, v56
	v_add_nc_u32_e32 v6, 0x1800, v24
	ds_read2_b64 v[2:5], v16 offset0:80 offset1:170
	v_add_co_u32 v14, vcc_lo, v0, v14
	v_lshlrev_b64 v[12:13], 3, v[60:61]
	v_add_nc_u32_e32 v60, 0x3de, v56
	v_add_co_ci_u32_e32 v15, vcc_lo, v1, v15, vcc_lo
	ds_read2_b64 v[6:9], v6 offset0:132 offset1:222
	v_add_co_u32 v16, vcc_lo, v0, v10
	v_add_co_ci_u32_e32 v17, vcc_lo, v1, v11, vcc_lo
	v_lshlrev_b64 v[10:11], 3, v[60:61]
	v_add_co_u32 v18, vcc_lo, v0, v12
	v_add_nc_u32_e32 v12, 0x2000, v24
	v_add_co_ci_u32_e32 v19, vcc_lo, v1, v13, vcc_lo
	v_add_nc_u32_e32 v60, 0x438, v56
	v_add_co_u32 v20, vcc_lo, v0, v10
	v_add_co_ci_u32_e32 v21, vcc_lo, v1, v11, vcc_lo
	ds_read2_b64 v[10:13], v12 offset0:56 offset1:146
	v_lshlrev_b64 v[22:23], 3, v[60:61]
	v_add_nc_u32_e32 v60, 0x492, v56
	s_waitcnt lgkmcnt(2)
	global_store_dwordx2 v[14:15], v[2:3], off
	global_store_dwordx2 v[16:17], v[4:5], off
	s_waitcnt lgkmcnt(1)
	global_store_dwordx2 v[18:19], v[6:7], off
	global_store_dwordx2 v[20:21], v[8:9], off
	v_add_nc_u32_e32 v6, 0x2400, v24
	v_add_nc_u32_e32 v7, 0x2800, v24
	;; [unrolled: 1-line block ×3, first 2 shown]
	v_lshlrev_b64 v[2:3], 3, v[60:61]
	v_add_co_u32 v4, vcc_lo, v0, v22
	v_add_co_ci_u32_e32 v5, vcc_lo, v1, v23, vcc_lo
	v_add_nc_u32_e32 v60, 0x4ec, v56
	v_add_co_u32 v2, vcc_lo, v0, v2
	v_add_co_ci_u32_e32 v3, vcc_lo, v1, v3, vcc_lo
	v_lshlrev_b64 v[14:15], 3, v[60:61]
	v_add_nc_u32_e32 v60, 0x546, v56
	s_waitcnt lgkmcnt(0)
	global_store_dwordx2 v[4:5], v[10:11], off
	global_store_dwordx2 v[2:3], v[12:13], off
	ds_read2_b64 v[2:5], v6 offset0:108 offset1:198
	ds_read2_b64 v[6:9], v7 offset0:160 offset1:250
	v_lshlrev_b64 v[10:11], 3, v[60:61]
	v_add_nc_u32_e32 v60, 0x5a0, v56
	v_add_co_u32 v12, vcc_lo, v0, v14
	v_add_co_ci_u32_e32 v13, vcc_lo, v1, v15, vcc_lo
	v_lshlrev_b64 v[14:15], 3, v[60:61]
	v_add_co_u32 v10, vcc_lo, v0, v10
	v_add_co_ci_u32_e32 v11, vcc_lo, v1, v11, vcc_lo
	v_add_nc_u32_e32 v60, 0x5fa, v56
	v_add_co_u32 v14, vcc_lo, v0, v14
	v_add_co_ci_u32_e32 v15, vcc_lo, v1, v15, vcc_lo
	v_lshlrev_b64 v[16:17], 3, v[60:61]
	v_add_nc_u32_e32 v60, 0x654, v56
	s_waitcnt lgkmcnt(1)
	global_store_dwordx2 v[12:13], v[2:3], off
	global_store_dwordx2 v[10:11], v[4:5], off
	s_waitcnt lgkmcnt(0)
	global_store_dwordx2 v[14:15], v[6:7], off
	ds_read2_b64 v[2:5], v18 offset0:84 offset1:174
	v_lshlrev_b64 v[6:7], 3, v[60:61]
	v_add_nc_u32_e32 v60, 0x6ae, v56
	v_add_co_u32 v10, vcc_lo, v0, v16
	v_add_co_ci_u32_e32 v11, vcc_lo, v1, v17, vcc_lo
	v_lshlrev_b64 v[12:13], 3, v[60:61]
	v_add_nc_u32_e32 v60, 0x708, v56
	v_add_co_u32 v6, vcc_lo, v0, v6
	v_add_co_ci_u32_e32 v7, vcc_lo, v1, v7, vcc_lo
	v_add_co_u32 v12, vcc_lo, v0, v12
	v_lshlrev_b64 v[14:15], 3, v[60:61]
	v_add_nc_u32_e32 v60, 0x762, v56
	v_add_co_ci_u32_e32 v13, vcc_lo, v1, v13, vcc_lo
	global_store_dwordx2 v[10:11], v[8:9], off
	s_waitcnt lgkmcnt(0)
	global_store_dwordx2 v[6:7], v[2:3], off
	global_store_dwordx2 v[12:13], v[4:5], off
	v_lshlrev_b64 v[10:11], 3, v[60:61]
	v_add_nc_u32_e32 v60, 0x7bc, v56
	v_add_nc_u32_e32 v16, 0x3800, v24
	;; [unrolled: 1-line block ×3, first 2 shown]
	v_add_co_u32 v14, vcc_lo, v0, v14
	v_lshlrev_b64 v[12:13], 3, v[60:61]
	v_add_nc_u32_e32 v60, 0x816, v56
	v_add_co_ci_u32_e32 v15, vcc_lo, v1, v15, vcc_lo
	ds_read2_b64 v[2:5], v16 offset0:8 offset1:98
	v_add_co_u32 v16, vcc_lo, v0, v10
	ds_read2_b64 v[6:9], v6 offset0:60 offset1:150
	v_add_co_ci_u32_e32 v17, vcc_lo, v1, v11, vcc_lo
	v_lshlrev_b64 v[10:11], 3, v[60:61]
	v_add_co_u32 v18, vcc_lo, v0, v12
	v_add_nc_u32_e32 v12, 0x4000, v24
	v_add_co_ci_u32_e32 v19, vcc_lo, v1, v13, vcc_lo
	v_add_co_u32 v20, vcc_lo, v0, v10
	v_add_nc_u32_e32 v60, 0x870, v56
	v_add_co_ci_u32_e32 v21, vcc_lo, v1, v11, vcc_lo
	ds_read2_b64 v[10:13], v12 offset0:112 offset1:202
	s_waitcnt lgkmcnt(2)
	global_store_dwordx2 v[14:15], v[2:3], off
	global_store_dwordx2 v[16:17], v[4:5], off
	s_waitcnt lgkmcnt(1)
	global_store_dwordx2 v[18:19], v[6:7], off
	global_store_dwordx2 v[20:21], v[8:9], off
	v_lshlrev_b64 v[22:23], 3, v[60:61]
	v_add_nc_u32_e32 v60, 0x8ca, v56
	v_add_nc_u32_e32 v6, 0x4800, v24
	;; [unrolled: 1-line block ×3, first 2 shown]
	v_lshlrev_b64 v[2:3], 3, v[60:61]
	v_add_nc_u32_e32 v60, 0x924, v56
	v_add_co_u32 v4, vcc_lo, v0, v22
	v_add_co_ci_u32_e32 v5, vcc_lo, v1, v23, vcc_lo
	v_lshlrev_b64 v[14:15], 3, v[60:61]
	v_add_nc_u32_e32 v60, 0x97e, v56
	v_add_co_u32 v2, vcc_lo, v0, v2
	v_add_co_ci_u32_e32 v3, vcc_lo, v1, v3, vcc_lo
	s_waitcnt lgkmcnt(0)
	global_store_dwordx2 v[4:5], v[10:11], off
	v_lshlrev_b64 v[10:11], 3, v[60:61]
	v_add_nc_u32_e32 v60, 0x9d8, v56
	global_store_dwordx2 v[2:3], v[12:13], off
	v_add_co_u32 v12, vcc_lo, v0, v14
	ds_read2_b64 v[2:5], v6 offset0:36 offset1:126
	v_add_co_ci_u32_e32 v13, vcc_lo, v1, v15, vcc_lo
	v_lshlrev_b64 v[14:15], 3, v[60:61]
	v_add_nc_u32_e32 v60, 0xa32, v56
	ds_read2_b64 v[6:9], v7 offset0:88 offset1:178
	v_add_co_u32 v10, vcc_lo, v0, v10
	v_add_co_ci_u32_e32 v11, vcc_lo, v1, v11, vcc_lo
	v_lshlrev_b64 v[16:17], 3, v[60:61]
	v_add_co_u32 v14, vcc_lo, v0, v14
	v_add_co_ci_u32_e32 v15, vcc_lo, v1, v15, vcc_lo
	v_add_co_u32 v16, vcc_lo, v0, v16
	v_add_co_ci_u32_e32 v17, vcc_lo, v1, v17, vcc_lo
	v_cmp_eq_u32_e32 vcc_lo, 0x59, v56
	s_waitcnt lgkmcnt(1)
	global_store_dwordx2 v[12:13], v[2:3], off
	global_store_dwordx2 v[10:11], v[4:5], off
	s_waitcnt lgkmcnt(0)
	global_store_dwordx2 v[14:15], v[6:7], off
	global_store_dwordx2 v[16:17], v[8:9], off
	s_and_b32 exec_lo, exec_lo, vcc_lo
	s_cbranch_execz .LBB0_20
; %bb.19:
	v_mov_b32_e32 v2, 0
	v_add_co_u32 v0, vcc_lo, 0x5000, v0
	v_add_co_ci_u32_e32 v1, vcc_lo, 0, v1, vcc_lo
	ds_read_b64 v[2:3], v2 offset:21600
	s_waitcnt lgkmcnt(0)
	global_store_dwordx2 v[0:1], v[2:3], off offset:1120
.LBB0_20:
	s_endpgm
	.section	.rodata,"a",@progbits
	.p2align	6, 0x0
	.amdhsa_kernel fft_rtc_fwd_len2700_factors_3_10_10_3_3_wgs_90_tpt_90_halfLds_sp_op_CI_CI_unitstride_sbrr_R2C_dirReg
		.amdhsa_group_segment_fixed_size 0
		.amdhsa_private_segment_fixed_size 0
		.amdhsa_kernarg_size 104
		.amdhsa_user_sgpr_count 6
		.amdhsa_user_sgpr_private_segment_buffer 1
		.amdhsa_user_sgpr_dispatch_ptr 0
		.amdhsa_user_sgpr_queue_ptr 0
		.amdhsa_user_sgpr_kernarg_segment_ptr 1
		.amdhsa_user_sgpr_dispatch_id 0
		.amdhsa_user_sgpr_flat_scratch_init 0
		.amdhsa_user_sgpr_private_segment_size 0
		.amdhsa_wavefront_size32 1
		.amdhsa_uses_dynamic_stack 0
		.amdhsa_system_sgpr_private_segment_wavefront_offset 0
		.amdhsa_system_sgpr_workgroup_id_x 1
		.amdhsa_system_sgpr_workgroup_id_y 0
		.amdhsa_system_sgpr_workgroup_id_z 0
		.amdhsa_system_sgpr_workgroup_info 0
		.amdhsa_system_vgpr_workitem_id 0
		.amdhsa_next_free_vgpr 143
		.amdhsa_next_free_sgpr 27
		.amdhsa_reserve_vcc 1
		.amdhsa_reserve_flat_scratch 0
		.amdhsa_float_round_mode_32 0
		.amdhsa_float_round_mode_16_64 0
		.amdhsa_float_denorm_mode_32 3
		.amdhsa_float_denorm_mode_16_64 3
		.amdhsa_dx10_clamp 1
		.amdhsa_ieee_mode 1
		.amdhsa_fp16_overflow 0
		.amdhsa_workgroup_processor_mode 1
		.amdhsa_memory_ordered 1
		.amdhsa_forward_progress 0
		.amdhsa_shared_vgpr_count 0
		.amdhsa_exception_fp_ieee_invalid_op 0
		.amdhsa_exception_fp_denorm_src 0
		.amdhsa_exception_fp_ieee_div_zero 0
		.amdhsa_exception_fp_ieee_overflow 0
		.amdhsa_exception_fp_ieee_underflow 0
		.amdhsa_exception_fp_ieee_inexact 0
		.amdhsa_exception_int_div_zero 0
	.end_amdhsa_kernel
	.text
.Lfunc_end0:
	.size	fft_rtc_fwd_len2700_factors_3_10_10_3_3_wgs_90_tpt_90_halfLds_sp_op_CI_CI_unitstride_sbrr_R2C_dirReg, .Lfunc_end0-fft_rtc_fwd_len2700_factors_3_10_10_3_3_wgs_90_tpt_90_halfLds_sp_op_CI_CI_unitstride_sbrr_R2C_dirReg
                                        ; -- End function
	.section	.AMDGPU.csdata,"",@progbits
; Kernel info:
; codeLenInByte = 20400
; NumSgprs: 29
; NumVgprs: 143
; ScratchSize: 0
; MemoryBound: 0
; FloatMode: 240
; IeeeMode: 1
; LDSByteSize: 0 bytes/workgroup (compile time only)
; SGPRBlocks: 3
; VGPRBlocks: 17
; NumSGPRsForWavesPerEU: 29
; NumVGPRsForWavesPerEU: 143
; Occupancy: 7
; WaveLimiterHint : 1
; COMPUTE_PGM_RSRC2:SCRATCH_EN: 0
; COMPUTE_PGM_RSRC2:USER_SGPR: 6
; COMPUTE_PGM_RSRC2:TRAP_HANDLER: 0
; COMPUTE_PGM_RSRC2:TGID_X_EN: 1
; COMPUTE_PGM_RSRC2:TGID_Y_EN: 0
; COMPUTE_PGM_RSRC2:TGID_Z_EN: 0
; COMPUTE_PGM_RSRC2:TIDIG_COMP_CNT: 0
	.text
	.p2alignl 6, 3214868480
	.fill 48, 4, 3214868480
	.type	__hip_cuid_f34441db17716a49,@object ; @__hip_cuid_f34441db17716a49
	.section	.bss,"aw",@nobits
	.globl	__hip_cuid_f34441db17716a49
__hip_cuid_f34441db17716a49:
	.byte	0                               ; 0x0
	.size	__hip_cuid_f34441db17716a49, 1

	.ident	"AMD clang version 19.0.0git (https://github.com/RadeonOpenCompute/llvm-project roc-6.4.0 25133 c7fe45cf4b819c5991fe208aaa96edf142730f1d)"
	.section	".note.GNU-stack","",@progbits
	.addrsig
	.addrsig_sym __hip_cuid_f34441db17716a49
	.amdgpu_metadata
---
amdhsa.kernels:
  - .args:
      - .actual_access:  read_only
        .address_space:  global
        .offset:         0
        .size:           8
        .value_kind:     global_buffer
      - .offset:         8
        .size:           8
        .value_kind:     by_value
      - .actual_access:  read_only
        .address_space:  global
        .offset:         16
        .size:           8
        .value_kind:     global_buffer
      - .actual_access:  read_only
        .address_space:  global
        .offset:         24
        .size:           8
        .value_kind:     global_buffer
      - .actual_access:  read_only
        .address_space:  global
        .offset:         32
        .size:           8
        .value_kind:     global_buffer
      - .offset:         40
        .size:           8
        .value_kind:     by_value
      - .actual_access:  read_only
        .address_space:  global
        .offset:         48
        .size:           8
        .value_kind:     global_buffer
      - .actual_access:  read_only
        .address_space:  global
        .offset:         56
        .size:           8
        .value_kind:     global_buffer
      - .offset:         64
        .size:           4
        .value_kind:     by_value
      - .actual_access:  read_only
        .address_space:  global
        .offset:         72
        .size:           8
        .value_kind:     global_buffer
      - .actual_access:  read_only
        .address_space:  global
        .offset:         80
        .size:           8
        .value_kind:     global_buffer
      - .actual_access:  read_only
        .address_space:  global
        .offset:         88
        .size:           8
        .value_kind:     global_buffer
      - .actual_access:  write_only
        .address_space:  global
        .offset:         96
        .size:           8
        .value_kind:     global_buffer
    .group_segment_fixed_size: 0
    .kernarg_segment_align: 8
    .kernarg_segment_size: 104
    .language:       OpenCL C
    .language_version:
      - 2
      - 0
    .max_flat_workgroup_size: 90
    .name:           fft_rtc_fwd_len2700_factors_3_10_10_3_3_wgs_90_tpt_90_halfLds_sp_op_CI_CI_unitstride_sbrr_R2C_dirReg
    .private_segment_fixed_size: 0
    .sgpr_count:     29
    .sgpr_spill_count: 0
    .symbol:         fft_rtc_fwd_len2700_factors_3_10_10_3_3_wgs_90_tpt_90_halfLds_sp_op_CI_CI_unitstride_sbrr_R2C_dirReg.kd
    .uniform_work_group_size: 1
    .uses_dynamic_stack: false
    .vgpr_count:     143
    .vgpr_spill_count: 0
    .wavefront_size: 32
    .workgroup_processor_mode: 1
amdhsa.target:   amdgcn-amd-amdhsa--gfx1030
amdhsa.version:
  - 1
  - 2
...

	.end_amdgpu_metadata
